;; amdgpu-corpus repo=ROCm/rocFFT kind=compiled arch=gfx1030 opt=O3
	.text
	.amdgcn_target "amdgcn-amd-amdhsa--gfx1030"
	.amdhsa_code_object_version 6
	.protected	bluestein_single_back_len1701_dim1_sp_op_CI_CI ; -- Begin function bluestein_single_back_len1701_dim1_sp_op_CI_CI
	.globl	bluestein_single_back_len1701_dim1_sp_op_CI_CI
	.p2align	8
	.type	bluestein_single_back_len1701_dim1_sp_op_CI_CI,@function
bluestein_single_back_len1701_dim1_sp_op_CI_CI: ; @bluestein_single_back_len1701_dim1_sp_op_CI_CI
; %bb.0:
	s_load_dwordx4 s[8:11], s[4:5], 0x28
	v_mul_u32_u24_e32 v1, 0x411, v0
	s_mov_b64 s[22:23], s[2:3]
	s_mov_b64 s[20:21], s[0:1]
	v_mov_b32_e32 v5, 0
	s_add_u32 s20, s20, s7
	v_lshrrev_b32_e32 v1, 16, v1
	s_addc_u32 s21, s21, 0
	s_mov_b32 s0, exec_lo
	v_add_nc_u32_e32 v4, s6, v1
	s_waitcnt lgkmcnt(0)
	v_cmpx_gt_u64_e64 s[8:9], v[4:5]
	s_cbranch_execz .LBB0_10
; %bb.1:
	s_clause 0x1
	s_load_dwordx4 s[0:3], s[4:5], 0x18
	s_load_dwordx4 s[12:15], s[4:5], 0x0
	v_mul_lo_u16 v1, v1, 63
	v_mov_b32_e32 v15, v4
                                        ; implicit-def: $vgpr246
	v_sub_nc_u16 v68, v0, v1
	v_mov_b32_e32 v14, v15
	v_and_b32_e32 v203, 0xffff, v68
	v_lshlrev_b32_e32 v254, 3, v203
	v_add_co_u32 v142, null, 0xbd, v203
	s_waitcnt lgkmcnt(0)
	s_load_dwordx4 s[16:19], s[0:1], 0x0
	s_clause 0x4
	global_load_dwordx2 v[61:62], v254, s[12:13]
	global_load_dwordx2 v[63:64], v254, s[12:13] offset:504
	global_load_dwordx2 v[111:112], v254, s[12:13] offset:1008
	;; [unrolled: 1-line block ×4, first 2 shown]
	v_add_co_u32 v0, s0, s12, v254
	v_add_co_ci_u32_e64 v1, null, s13, 0, s0
	v_add_nc_u32_e32 v70, 0x1000, v254
	v_add_co_u32 v2, vcc_lo, 0x1000, v0
	v_add_co_ci_u32_e32 v3, vcc_lo, 0, v1, vcc_lo
	v_add_co_u32 v6, vcc_lo, 0x2000, v0
	v_add_co_ci_u32_e32 v7, vcc_lo, 0, v1, vcc_lo
	;; [unrolled: 2-line block ×3, first 2 shown]
	s_waitcnt lgkmcnt(0)
	v_mad_u64_u32 v[4:5], null, s18, v15, 0
	buffer_store_dword v14, off, s[20:23], 0 offset:12 ; 4-byte Folded Spill
	buffer_store_dword v15, off, s[20:23], 0 offset:16 ; 4-byte Folded Spill
	v_mad_u64_u32 v[8:9], null, s16, v203, 0
	v_add_co_u32 v12, vcc_lo, 0x1800, v0
	v_add_co_ci_u32_e32 v13, vcc_lo, 0, v1, vcc_lo
	s_mul_i32 s0, s17, 0x11b8
	s_mul_hi_u32 s1, s16, 0x11b8
	v_mad_u64_u32 v[17:18], null, s17, v203, v[9:10]
	s_mul_i32 s6, s16, 0x11b8
	s_add_i32 s1, s1, s0
	s_clause 0x6
	global_load_dwordx2 v[77:78], v[6:7], off offset:880
	global_load_dwordx2 v[117:118], v[6:7], off offset:1384
	;; [unrolled: 1-line block ×7, first 2 shown]
	s_mul_hi_u32 s8, s16, 0xffffde88
	s_mul_i32 s7, s17, 0xffffde88
	v_mov_b32_e32 v9, v17
	s_mul_i32 s9, s16, 0xffffde88
	s_sub_i32 s0, s8, s16
	v_add_nc_u32_e32 v69, 0x2000, v254
	s_add_i32 s0, s0, s7
	v_lshlrev_b64 v[8:9], 3, v[8:9]
	v_add_nc_u32_e32 v82, 0x1400, v254
	v_add_nc_u32_e32 v71, 0x2800, v254
	;; [unrolled: 1-line block ×5, first 2 shown]
	v_mad_u64_u32 v[14:15], null, s19, v15, v[5:6]
	v_add_co_u32 v15, vcc_lo, 0x2800, v0
	v_add_co_ci_u32_e32 v16, vcc_lo, 0, v1, vcc_lo
	v_add_co_u32 v0, vcc_lo, 0x800, v0
	v_mov_b32_e32 v5, v14
	v_add_co_ci_u32_e32 v1, vcc_lo, 0, v1, vcc_lo
	v_lshlrev_b64 v[4:5], 3, v[4:5]
	s_clause 0x2
	global_load_dwordx2 v[95:96], v[0:1], off offset:472
	global_load_dwordx2 v[103:104], v[12:13], off offset:408
	;; [unrolled: 1-line block ×3, first 2 shown]
	v_add_co_u32 v4, vcc_lo, s10, v4
	v_add_co_ci_u32_e32 v5, vcc_lo, s11, v5, vcc_lo
	v_add_co_u32 v4, vcc_lo, v4, v8
	v_add_co_ci_u32_e32 v5, vcc_lo, v5, v9, vcc_lo
	;; [unrolled: 2-line block ×4, first 2 shown]
	s_clause 0x1
	global_load_dwordx2 v[8:9], v[8:9], off
	global_load_dwordx2 v[4:5], v[4:5], off
	v_add_co_u32 v19, vcc_lo, v17, s9
	v_add_co_ci_u32_e32 v20, vcc_lo, s0, v18, vcc_lo
	s_clause 0x2
	global_load_dwordx2 v[109:110], v[15:16], off offset:344
	global_load_dwordx2 v[101:102], v[15:16], off offset:848
	;; [unrolled: 1-line block ×3, first 2 shown]
	v_add_co_u32 v2, vcc_lo, v19, s6
	v_add_co_ci_u32_e32 v3, vcc_lo, s1, v20, vcc_lo
	global_load_dwordx2 v[17:18], v[17:18], off
	v_add_co_u32 v21, vcc_lo, v2, s6
	v_add_co_ci_u32_e32 v22, vcc_lo, s1, v3, vcc_lo
	s_clause 0x1
	global_load_dwordx2 v[19:20], v[19:20], off
	global_load_dwordx2 v[2:3], v[2:3], off
	v_add_co_u32 v23, vcc_lo, v21, s9
	v_add_co_ci_u32_e32 v24, vcc_lo, s0, v22, vcc_lo
	global_load_dwordx2 v[21:22], v[21:22], off
	v_add_co_u32 v25, vcc_lo, v23, s6
	v_add_co_ci_u32_e32 v26, vcc_lo, s1, v24, vcc_lo
	;; [unrolled: 3-line block ×14, first 2 shown]
	v_add_co_u32 v51, vcc_lo, v49, s6
	v_add_co_ci_u32_e32 v52, vcc_lo, s1, v50, vcc_lo
	v_add_co_u32 v53, vcc_lo, v51, s9
	v_add_co_ci_u32_e32 v54, vcc_lo, s0, v52, vcc_lo
	v_add_co_u32 v55, vcc_lo, v53, s6
	v_add_co_ci_u32_e32 v56, vcc_lo, s1, v54, vcc_lo
	v_add_co_u32 v57, vcc_lo, v55, s6
	v_add_co_ci_u32_e32 v58, vcc_lo, s1, v56, vcc_lo
	global_load_dwordx2 v[49:50], v[49:50], off
	global_load_dwordx2 v[47:48], v[47:48], off
	s_clause 0x2
	global_load_dwordx2 v[99:100], v[0:1], off offset:976
	global_load_dwordx2 v[87:88], v[12:13], off offset:1416
	;; [unrolled: 1-line block ×3, first 2 shown]
	global_load_dwordx2 v[59:60], v[57:58], off
	global_load_dwordx2 v[89:90], v[15:16], off offset:1856
	global_load_dwordx2 v[14:15], v[51:52], off
	global_load_dwordx2 v[51:52], v[53:54], off
	global_load_dwordx2 v[85:86], v[0:1], off offset:1480
	v_add_co_u32 v53, vcc_lo, v57, s9
	v_add_co_ci_u32_e32 v54, vcc_lo, s0, v58, vcc_lo
	global_load_dwordx2 v[83:84], v[12:13], off offset:1920
	global_load_dwordx2 v[12:13], v[55:56], off
	v_add_co_u32 v55, vcc_lo, v53, s6
	v_add_co_ci_u32_e32 v56, vcc_lo, s1, v54, vcc_lo
	global_load_dwordx2 v[72:73], v[0:1], off offset:1984
	global_load_dwordx2 v[0:1], v[53:54], off
	;; [unrolled: 4-line block ×3, first 2 shown]
	global_load_dwordx2 v[79:80], v[10:11], off offset:816
	global_load_dwordx2 v[10:11], v[53:54], off
	v_add_nc_u32_e32 v57, 0x3000, v254
	v_cmp_gt_u16_e32 vcc_lo, 18, v68
	s_waitcnt vmcnt(38)
	v_mul_f32_e32 v16, v8, v122
	s_waitcnt vmcnt(37)
	v_mul_f32_e32 v56, v4, v62
	v_mul_f32_e32 v53, v9, v122
	;; [unrolled: 1-line block ×3, first 2 shown]
	v_fma_f32 v54, v9, v121, -v16
	v_fma_f32 v56, v5, v61, -v56
	buffer_store_dword v121, off, s[20:23], 0 offset:228 ; 4-byte Folded Spill
	buffer_store_dword v122, off, s[20:23], 0 offset:232 ; 4-byte Folded Spill
	;; [unrolled: 1-line block ×4, first 2 shown]
	s_waitcnt vmcnt(33)
	v_mul_f32_e32 v5, v17, v78
	s_waitcnt vmcnt(32)
	v_mul_f32_e32 v9, v19, v64
	;; [unrolled: 2-line block ×3, first 2 shown]
	v_fma_f32 v9, v20, v63, -v9
	v_fmac_f32_e32 v53, v8, v121
	v_fmac_f32_e32 v55, v4, v61
	v_mul_f32_e32 v4, v18, v78
	v_mul_f32_e32 v8, v20, v64
	s_waitcnt vmcnt(26)
	v_mul_f32_e32 v20, v30, v106
	ds_write_b64 v254, v[53:54] offset:4536
	v_fmac_f32_e32 v4, v17, v77
	buffer_store_dword v77, off, s[20:23], 0 offset:220 ; 4-byte Folded Spill
	buffer_store_dword v78, off, s[20:23], 0 offset:224 ; 4-byte Folded Spill
	s_load_dwordx4 s[8:11], s[2:3], 0x0
	buffer_store_dword v63, off, s[20:23], 0 offset:28 ; 4-byte Folded Spill
	buffer_store_dword v64, off, s[20:23], 0 offset:32 ; 4-byte Folded Spill
	v_mul_f32_e32 v17, v2, v120
	v_add_nc_u32_e32 v78, 0xc00, v254
	s_load_dwordx2 s[2:3], s[4:5], 0x38
	v_fma_f32 v17, v3, v119, -v17
	v_fma_f32 v5, v18, v77, -v5
	v_mul_f32_e32 v18, v28, v114
	v_fmac_f32_e32 v8, v19, v63
	v_mul_f32_e32 v19, v27, v114
	v_add_nc_u32_e32 v77, 0x1c00, v254
	ds_write_b64 v254, v[4:5] offset:9072
	v_mul_f32_e32 v4, v21, v118
	ds_write2_b64 v254, v[55:56], v[8:9] offset1:63
	buffer_store_dword v119, off, s[20:23], 0 offset:212 ; 4-byte Folded Spill
	buffer_store_dword v120, off, s[20:23], 0 offset:216 ; 4-byte Folded Spill
	v_mul_f32_e32 v5, v23, v112
	v_mul_f32_e32 v9, v25, v116
	v_fma_f32 v3, v22, v117, -v4
	v_mul_f32_e32 v4, v24, v112
	v_mul_f32_e32 v8, v26, v116
	v_fma_f32 v5, v24, v111, -v5
	v_fma_f32 v9, v26, v115, -v9
	;; [unrolled: 1-line block ×3, first 2 shown]
	v_fmac_f32_e32 v16, v2, v119
	v_mul_f32_e32 v2, v22, v118
	buffer_store_dword v117, off, s[20:23], 0 offset:204 ; 4-byte Folded Spill
	buffer_store_dword v118, off, s[20:23], 0 offset:208 ; 4-byte Folded Spill
	;; [unrolled: 1-line block ×6, first 2 shown]
	s_waitcnt vmcnt(0)
	v_mul_f32_e32 v22, v11, v80
	v_fmac_f32_e32 v2, v21, v117
	v_mul_f32_e32 v21, v29, v106
	v_fmac_f32_e32 v8, v25, v115
	v_fmac_f32_e32 v4, v23, v111
	v_fma_f32 v21, v30, v105, -v21
	ds_write2_b64 v70, v[16:17], v[8:9] offset0:118 offset1:181
	buffer_store_dword v113, off, s[20:23], 0 offset:188 ; 4-byte Folded Spill
	buffer_store_dword v114, off, s[20:23], 0 offset:192 ; 4-byte Folded Spill
	;; [unrolled: 1-line block ×4, first 2 shown]
	v_mul_f32_e32 v9, v31, v108
	v_mul_f32_e32 v17, v37, v104
	;; [unrolled: 1-line block ×4, first 2 shown]
	v_fma_f32 v9, v32, v107, -v9
	v_fma_f32 v17, v38, v103, -v17
	v_fmac_f32_e32 v18, v27, v113
	v_fmac_f32_e32 v20, v29, v105
	ds_write2_b64 v69, v[2:3], v[18:19] offset0:173 offset1:236
	v_mul_f32_e32 v3, v33, v110
	ds_write2_b64 v254, v[4:5], v[20:21] offset0:126 offset1:189
	v_mul_f32_e32 v5, v35, v98
	buffer_store_dword v107, off, s[20:23], 0 offset:164 ; 4-byte Folded Spill
	buffer_store_dword v108, off, s[20:23], 0 offset:168 ; 4-byte Folded Spill
	v_mul_f32_e32 v2, v34, v110
	v_fma_f32 v3, v34, v109, -v3
	v_mul_f32_e32 v4, v36, v98
	buffer_store_dword v109, off, s[20:23], 0 offset:172 ; 4-byte Folded Spill
	buffer_store_dword v110, off, s[20:23], 0 offset:176 ; 4-byte Folded Spill
	v_fma_f32 v5, v36, v97, -v5
	buffer_store_dword v97, off, s[20:23], 0 offset:124 ; 4-byte Folded Spill
	buffer_store_dword v98, off, s[20:23], 0 offset:128 ; 4-byte Folded Spill
	;; [unrolled: 1-line block ×4, first 2 shown]
	v_mul_f32_e32 v19, v39, v102
	v_mul_f32_e32 v21, v41, v96
	;; [unrolled: 1-line block ×4, first 2 shown]
	v_fma_f32 v19, v40, v101, -v19
	v_fma_f32 v21, v42, v95, -v21
	v_fmac_f32_e32 v8, v31, v107
	v_fmac_f32_e32 v2, v33, v109
	;; [unrolled: 1-line block ×4, first 2 shown]
	ds_write2_b64 v82, v[8:9], v[16:17] offset0:116 offset1:179
	buffer_store_dword v101, off, s[20:23], 0 offset:140 ; 4-byte Folded Spill
	buffer_store_dword v102, off, s[20:23], 0 offset:144 ; 4-byte Folded Spill
	;; [unrolled: 1-line block ×4, first 2 shown]
	v_mul_f32_e32 v9, v43, v94
	v_mul_f32_e32 v8, v44, v94
	;; [unrolled: 1-line block ×3, first 2 shown]
	v_mov_b32_e32 v96, 9
	v_fma_f32 v9, v44, v93, -v9
	v_fmac_f32_e32 v18, v39, v101
	v_fmac_f32_e32 v20, v41, v95
	ds_write2_b64 v71, v[2:3], v[18:19] offset0:43 offset1:106
	v_mul_f32_e32 v3, v45, v92
	ds_write2_b64 v81, v[4:5], v[20:21] offset0:124 offset1:187
	v_mul_f32_e32 v5, v47, v100
	v_mul_f32_e32 v18, v49, v88
	buffer_store_dword v93, off, s[20:23], 0 offset:108 ; 4-byte Folded Spill
	buffer_store_dword v94, off, s[20:23], 0 offset:112 ; 4-byte Folded Spill
	v_mul_f32_e32 v2, v46, v92
	v_fma_f32 v3, v46, v91, -v3
	v_mul_f32_e32 v4, v50, v88
	buffer_store_dword v91, off, s[20:23], 0 offset:100 ; 4-byte Folded Spill
	buffer_store_dword v92, off, s[20:23], 0 offset:104 ; 4-byte Folded Spill
	v_fma_f32 v17, v48, v99, -v5
	v_fma_f32 v5, v50, v87, -v18
	buffer_store_dword v87, off, s[20:23], 0 offset:84 ; 4-byte Folded Spill
	buffer_store_dword v88, off, s[20:23], 0 offset:88 ; 4-byte Folded Spill
	v_mul_f32_e32 v19, v14, v90
	buffer_store_dword v99, off, s[20:23], 0 offset:132 ; 4-byte Folded Spill
	buffer_store_dword v100, off, s[20:23], 0 offset:136 ; 4-byte Folded Spill
	v_mul_f32_e32 v20, v51, v86
	v_mul_f32_e32 v18, v15, v90
	;; [unrolled: 1-line block ×3, first 2 shown]
	v_fma_f32 v19, v15, v89, -v19
	v_mul_f32_e32 v15, v59, v66
	v_fma_f32 v21, v7, v74, -v21
	v_fma_f32 v15, v60, v65, -v15
	v_fmac_f32_e32 v8, v43, v93
	v_fmac_f32_e32 v2, v45, v91
	;; [unrolled: 1-line block ×4, first 2 shown]
	ds_write2_b64 v76, v[8:9], v[4:5] offset0:114 offset1:177
	v_mul_f32_e32 v9, v12, v84
	buffer_store_dword v89, off, s[20:23], 0 offset:92 ; 4-byte Folded Spill
	buffer_store_dword v90, off, s[20:23], 0 offset:96 ; 4-byte Folded Spill
	v_mul_f32_e32 v4, v52, v86
	v_fma_f32 v5, v52, v85, -v20
	v_mul_f32_e32 v8, v13, v84
	buffer_store_dword v85, off, s[20:23], 0 offset:76 ; 4-byte Folded Spill
	buffer_store_dword v86, off, s[20:23], 0 offset:80 ; 4-byte Folded Spill
	v_fma_f32 v9, v13, v83, -v9
	buffer_store_dword v83, off, s[20:23], 0 offset:68 ; 4-byte Folded Spill
	buffer_store_dword v84, off, s[20:23], 0 offset:72 ; 4-byte Folded Spill
	v_mul_f32_e32 v13, v0, v73
	v_mul_f32_e32 v20, v7, v75
	v_fma_f32 v13, v1, v72, -v13
	v_fmac_f32_e32 v18, v14, v89
	v_mul_f32_e32 v14, v60, v66
	buffer_store_dword v65, off, s[20:23], 0 offset:36 ; 4-byte Folded Spill
	buffer_store_dword v66, off, s[20:23], 0 offset:40 ; 4-byte Folded Spill
	v_fmac_f32_e32 v4, v51, v85
	v_fmac_f32_e32 v8, v12, v83
	v_mul_f32_e32 v12, v1, v73
	v_mul_f32_e32 v1, v10, v80
	buffer_store_dword v72, off, s[20:23], 0 offset:44 ; 4-byte Folded Spill
	buffer_store_dword v73, off, s[20:23], 0 offset:48 ; 4-byte Folded Spill
	;; [unrolled: 1-line block ×4, first 2 shown]
	v_add_nc_u32_e32 v83, 0x2c00, v254
	v_fma_f32 v23, v11, v79, -v1
	buffer_store_dword v79, off, s[20:23], 0 offset:60 ; 4-byte Folded Spill
	buffer_store_dword v80, off, s[20:23], 0 offset:64 ; 4-byte Folded Spill
	v_mov_b32_e32 v80, 3
	v_fmac_f32_e32 v14, v59, v65
	v_fmac_f32_e32 v12, v0, v72
	;; [unrolled: 1-line block ×4, first 2 shown]
	ds_write2_b64 v71, v[2:3], v[18:19] offset0:169 offset1:232
	ds_write2_b64 v230, v[16:17], v[4:5] offset0:122 offset1:185
	ds_write_b64 v254, v[12:13] offset:4032
	ds_write2_b64 v77, v[8:9], v[20:21] offset0:112 offset1:175
	ds_write2_b64 v57, v[14:15], v[22:23] offset0:39 offset1:102
	s_waitcnt lgkmcnt(0)
	s_waitcnt_vscnt null, 0x0
	s_barrier
	buffer_gl0_inv
	ds_read2_b64 v[8:11], v254 offset1:63
	ds_read2_b64 v[0:3], v78 offset0:120 offset1:183
	ds_read2_b64 v[50:53], v69 offset0:110 offset1:173
	v_mul_lo_u16 v4, v68, 3
	v_add_nc_u32_e32 v79, 0x2400, v254
	v_lshlrev_b32_sdwa v58, v80, v4 dst_sel:DWORD dst_unused:UNUSED_PAD src0_sel:DWORD src1_sel:WORD_0
	ds_read_b64 v[48:49], v254 offset:13104
	ds_read2_b64 v[44:47], v70 offset0:118 offset1:181
	ds_read2_b64 v[24:27], v254 offset0:126 offset1:189
	;; [unrolled: 1-line block ×7, first 2 shown]
	s_waitcnt lgkmcnt(9)
	v_add_f32_e32 v12, v8, v2
	s_waitcnt lgkmcnt(8)
	v_add_f32_e32 v13, v2, v50
	v_add_f32_e32 v14, v3, v51
	;; [unrolled: 1-line block ×3, first 2 shown]
	v_sub_f32_e32 v56, v3, v51
	v_sub_f32_e32 v57, v2, v50
	v_fma_f32 v54, -0.5, v13, v8
	v_fma_f32 v55, -0.5, v14, v9
	v_add_f32_e32 v2, v12, v50
	v_add_f32_e32 v3, v15, v51
	ds_read2_b64 v[12:15], v230 offset0:122 offset1:185
	ds_read2_b64 v[20:23], v83 offset0:104 offset1:167
	;; [unrolled: 1-line block ×3, first 2 shown]
	v_fmamk_f32 v8, v56, 0x3f5db3d7, v54
	v_fmamk_f32 v9, v57, 0xbf5db3d7, v55
	s_waitcnt lgkmcnt(0)
	s_barrier
	buffer_gl0_inv
	v_fmac_f32_e32 v54, 0xbf5db3d7, v56
	ds_write2_b64 v58, v[2:3], v[8:9] offset1:1
	v_add_f32_e32 v8, v44, v52
	v_add_f32_e32 v2, v10, v44
	;; [unrolled: 1-line block ×3, first 2 shown]
	v_sub_f32_e32 v9, v45, v53
	v_add_f32_e32 v45, v45, v53
	v_fma_f32 v10, -0.5, v8, v10
	v_add_co_u32 v8, s0, v203, 63
	v_sub_f32_e32 v44, v44, v52
	v_fmac_f32_e32 v11, -0.5, v45
	v_fmac_f32_e32 v55, 0x3f5db3d7, v57
	v_mul_u32_u24_e32 v45, 3, v8
	v_fmamk_f32 v50, v9, 0x3f5db3d7, v10
	v_fmac_f32_e32 v10, 0xbf5db3d7, v9
	v_fmamk_f32 v51, v44, 0xbf5db3d7, v11
	v_fmac_f32_e32 v11, 0x3f5db3d7, v44
	v_lshlrev_b32_e32 v45, 3, v45
	v_add_f32_e32 v9, v46, v40
	v_add_f32_e32 v2, v2, v52
	;; [unrolled: 1-line block ×3, first 2 shown]
	ds_write_b64 v58, v[54:55] offset:16
	ds_write_b64 v45, v[10:11] offset:16
	v_add_f32_e32 v11, v47, v41
	v_fma_f32 v10, -0.5, v9, v24
	v_add_co_u32 v9, null, 0x7e, v203
	ds_write2_b64 v45, v[2:3], v[50:51] offset1:1
	buffer_store_dword v45, off, s[20:23], 0 offset:488 ; 4-byte Folded Spill
	v_add_f32_e32 v2, v24, v46
	v_add_f32_e32 v3, v25, v47
	v_sub_f32_e32 v44, v47, v41
	v_sub_f32_e32 v45, v46, v40
	v_fma_f32 v11, -0.5, v11, v25
	v_mul_u32_u24_e32 v24, 3, v9
	v_add_f32_e32 v2, v2, v40
	v_add_f32_e32 v3, v3, v41
	buffer_store_dword v58, off, s[20:23], 0 offset:236 ; 4-byte Folded Spill
	v_fmamk_f32 v25, v45, 0xbf5db3d7, v11
	v_lshlrev_b32_e32 v40, 3, v24
	v_fmamk_f32 v24, v44, 0x3f5db3d7, v10
	v_fmac_f32_e32 v10, 0xbf5db3d7, v44
	v_fmac_f32_e32 v11, 0x3f5db3d7, v45
	v_add_co_ci_u32_e64 v84, null, 0, 0, s0
	ds_write2_b64 v40, v[2:3], v[24:25] offset1:1
	v_add_f32_e32 v3, v27, v37
	v_add_f32_e32 v24, v36, v42
	v_sub_f32_e32 v25, v37, v43
	v_add_f32_e32 v37, v37, v43
	v_add_f32_e32 v2, v26, v36
	v_sub_f32_e32 v36, v36, v42
	v_fma_f32 v26, -0.5, v24, v26
	v_mul_u32_u24_e32 v24, 3, v142
	v_fmac_f32_e32 v27, -0.5, v37
	v_add_f32_e32 v2, v2, v42
	v_add_f32_e32 v3, v3, v43
	ds_write_b64 v40, v[10:11] offset:16
	v_lshlrev_b32_e32 v41, 3, v24
	v_fmamk_f32 v10, v25, 0x3f5db3d7, v26
	v_fmamk_f32 v11, v36, 0xbf5db3d7, v27
	v_add_f32_e32 v24, v4, v38
	buffer_store_dword v40, off, s[20:23], 0 offset:468 ; 4-byte Folded Spill
	v_add_f32_e32 v37, v38, v32
	v_sub_f32_e32 v40, v39, v33
	ds_write2_b64 v41, v[2:3], v[10:11] offset1:1
	v_add_f32_e32 v10, v6, v28
	v_add_f32_e32 v3, v5, v39
	;; [unrolled: 1-line block ×3, first 2 shown]
	v_sub_f32_e32 v38, v38, v32
	v_add_f32_e32 v2, v24, v32
	v_add_f32_e32 v10, v10, v34
	;; [unrolled: 1-line block ×3, first 2 shown]
	v_sub_f32_e32 v34, v28, v34
	v_add_co_u32 v28, null, 0xfc, v203
	v_fma_f32 v4, -0.5, v37, v4
	v_fma_f32 v5, -0.5, v39, v5
	v_add_f32_e32 v11, v7, v29
	v_mul_u32_u24_e32 v24, 3, v28
	v_fmac_f32_e32 v26, 0xbf5db3d7, v25
	v_fmac_f32_e32 v27, 0x3f5db3d7, v36
	v_add_f32_e32 v3, v3, v33
	v_fmamk_f32 v25, v38, 0xbf5db3d7, v5
	v_lshlrev_b32_e32 v43, 3, v24
	v_fmamk_f32 v24, v40, 0x3f5db3d7, v4
	v_add_f32_e32 v11, v11, v35
	v_sub_f32_e32 v33, v29, v35
	v_add_f32_e32 v35, v29, v35
	v_add_f32_e32 v29, v12, v30
	ds_write_b64 v41, v[26:27] offset:16
	v_add_f32_e32 v27, v30, v20
	v_sub_f32_e32 v37, v30, v20
	v_add_f32_e32 v30, v14, v16
	v_add_f32_e32 v39, v16, v22
	v_sub_f32_e32 v42, v16, v22
	v_add_co_u32 v16, null, 0x13b, v203
	ds_write2_b64 v43, v[2:3], v[24:25] offset1:1
	v_add_f32_e32 v2, v15, v17
	v_fma_f32 v6, -0.5, v32, v6
	v_mul_u32_u24_e32 v3, 3, v16
	v_fmac_f32_e32 v7, -0.5, v35
	v_add_f32_e32 v26, v13, v31
	v_add_f32_e32 v20, v29, v20
	;; [unrolled: 1-line block ×4, first 2 shown]
	v_and_b32_e32 v2, 0xff, v68
	buffer_store_dword v41, off, s[20:23], 0 offset:472 ; 4-byte Folded Spill
	v_sub_f32_e32 v41, v17, v23
	v_add_f32_e32 v17, v17, v23
	v_fmac_f32_e32 v4, 0xbf5db3d7, v40
	v_fmac_f32_e32 v5, 0x3f5db3d7, v38
	v_lshlrev_b32_e32 v44, 3, v3
	v_fmamk_f32 v22, v33, 0x3f5db3d7, v6
	v_fmamk_f32 v23, v34, 0xbf5db3d7, v7
	v_and_b32_e32 v3, 0xff, v8
	v_sub_f32_e32 v36, v31, v21
	v_add_f32_e32 v31, v31, v21
	v_add_f32_e32 v21, v26, v21
	v_mul_lo_u16 v26, 0xab, v2
	ds_write_b64 v43, v[4:5] offset:16
	v_add_f32_e32 v4, v0, v18
	ds_write2_b64 v44, v[10:11], v[22:23] offset1:1
	v_add_f32_e32 v22, v18, v48
	v_sub_f32_e32 v35, v18, v48
	v_mul_lo_u16 v18, 0xab, v3
	v_lshrrev_b16 v32, 9, v26
	v_add_co_u32 v24, null, 0x17a, v203
	v_fma_f32 v10, -0.5, v27, v12
	v_lshrrev_b16 v27, 9, v18
	v_mul_lo_u16 v38, v32, 3
	v_mul_u32_u24_e32 v12, 3, v24
	v_fmac_f32_e32 v15, -0.5, v17
	v_add_co_u32 v25, null, 0x1b9, v203
	v_mul_lo_u16 v17, v27, 3
	v_add_f32_e32 v5, v1, v19
	v_sub_f32_e32 v23, v19, v49
	v_add_f32_e32 v19, v19, v49
	v_add_co_u32 v26, null, 0x1f8, v203
	v_sub_nc_u16 v18, v68, v38
	buffer_store_dword v43, off, s[20:23], 0 offset:464 ; 4-byte Folded Spill
	v_lshlrev_b32_e32 v43, 3, v12
	v_sub_nc_u16 v12, v8, v17
	v_fma_f32 v11, -0.5, v31, v13
	v_fma_f32 v14, -0.5, v39, v14
	v_mul_u32_u24_e32 v13, 3, v25
	v_fma_f32 v0, -0.5, v22, v0
	v_mul_u32_u24_e32 v22, 3, v26
	v_and_b32_e32 v31, 0xff, v18
	v_fmac_f32_e32 v1, -0.5, v19
	v_and_b32_e32 v38, 0xff, v12
	v_lshlrev_b32_e32 v40, 3, v13
	v_lshlrev_b32_e32 v39, 3, v22
	;; [unrolled: 1-line block ×3, first 2 shown]
	v_fmac_f32_e32 v6, 0xbf5db3d7, v33
	v_fmac_f32_e32 v7, 0x3f5db3d7, v34
	v_fmamk_f32 v12, v36, 0x3f5db3d7, v10
	v_fmamk_f32 v13, v37, 0xbf5db3d7, v11
	v_fmac_f32_e32 v10, 0xbf5db3d7, v36
	v_fmac_f32_e32 v11, 0x3f5db3d7, v37
	v_fmamk_f32 v17, v41, 0x3f5db3d7, v14
	v_fmamk_f32 v18, v42, 0xbf5db3d7, v15
	v_fmac_f32_e32 v14, 0xbf5db3d7, v41
	v_fmac_f32_e32 v15, 0x3f5db3d7, v42
	v_fmamk_f32 v22, v23, 0x3f5db3d7, v0
	v_fmac_f32_e32 v0, 0xbf5db3d7, v23
	v_fmamk_f32 v23, v35, 0xbf5db3d7, v1
	v_fmac_f32_e32 v1, 0x3f5db3d7, v35
	v_add_f32_e32 v4, v4, v48
	v_add_f32_e32 v5, v5, v49
	v_lshlrev_b32_e32 v33, 4, v38
	buffer_store_dword v44, off, s[20:23], 0 offset:480 ; 4-byte Folded Spill
	ds_write_b64 v44, v[6:7] offset:16
	ds_write2_b64 v43, v[20:21], v[12:13] offset1:1
	buffer_store_dword v43, off, s[20:23], 0 offset:484 ; 4-byte Folded Spill
	ds_write_b64 v43, v[10:11] offset:16
	ds_write2_b64 v40, v[29:30], v[17:18] offset1:1
	;; [unrolled: 3-line block ×3, first 2 shown]
	buffer_store_dword v39, off, s[20:23], 0 offset:460 ; 4-byte Folded Spill
	ds_write_b64 v39, v[0:1] offset:16
	s_waitcnt lgkmcnt(0)
	s_waitcnt_vscnt null, 0x0
	s_barrier
	buffer_gl0_inv
	s_clause 0x1
	global_load_dwordx4 v[152:155], v19, s[14:15]
	global_load_dwordx4 v[156:159], v33, s[14:15]
	v_and_b32_e32 v11, 0xff, v9
	v_and_b32_e32 v10, 0xff, v142
	ds_read2_b64 v[4:7], v69 offset0:110 offset1:173
	ds_read2_b64 v[12:15], v70 offset0:118 offset1:181
	v_mul_lo_u16 v0, 0xab, v11
	v_lshrrev_b16 v23, 9, v0
	v_mul_lo_u16 v0, v23, 3
	v_sub_nc_u16 v0, v9, v0
	v_and_b32_e32 v37, 0xff, v0
	v_lshlrev_b32_e32 v0, 4, v37
	global_load_dwordx4 v[160:163], v0, s[14:15]
	v_mul_lo_u16 v0, 0xab, v10
	v_lshrrev_b16 v40, 9, v0
	v_mul_lo_u16 v0, v40, 3
	v_sub_nc_u16 v0, v142, v0
	v_and_b32_e32 v42, 0xff, v0
	s_waitcnt vmcnt(2) lgkmcnt(1)
	v_mul_f32_e32 v1, v5, v155
	v_mul_f32_e32 v17, v4, v155
	s_waitcnt vmcnt(1)
	v_mul_f32_e32 v18, v7, v159
	v_mul_f32_e32 v39, v6, v159
	s_waitcnt lgkmcnt(0)
	v_mul_f32_e32 v0, v13, v157
	v_fma_f32 v19, v4, v154, -v1
	v_lshlrev_b32_e32 v1, 4, v42
	v_fmac_f32_e32 v17, v5, v154
	v_fma_f32 v41, v6, v158, -v18
	v_fmac_f32_e32 v39, v7, v158
	ds_read2_b64 v[4:7], v79 offset0:108 offset1:171
	global_load_dwordx4 v[164:167], v1, s[14:15]
	v_fma_f32 v44, v12, v156, -v0
	v_mul_f32_e32 v43, v12, v157
	v_fmac_f32_e32 v43, v13, v156
	s_waitcnt vmcnt(1)
	v_mul_f32_e32 v0, v15, v161
	s_waitcnt lgkmcnt(0)
	v_mul_f32_e32 v48, v4, v163
	v_mul_f32_e32 v46, v14, v161
	v_fma_f32 v45, v14, v160, -v0
	v_mul_f32_e32 v0, v5, v163
	v_fmac_f32_e32 v48, v5, v162
	v_fmac_f32_e32 v46, v15, v160
	v_fma_f32 v47, v4, v162, -v0
	s_waitcnt vmcnt(0)
	v_mul_f32_e32 v0, v7, v167
	v_mul_f32_e32 v50, v6, v167
	v_fma_f32 v49, v6, v166, -v0
	v_mov_b32_e32 v0, 0xaaab
	v_fmac_f32_e32 v50, v7, v166
	v_mul_u32_u24_sdwa v1, v28, v0 dst_sel:DWORD dst_unused:UNUSED_PAD src0_sel:WORD_0 src1_sel:DWORD
	v_lshrrev_b32_e32 v51, 17, v1
	v_mul_u32_u24_sdwa v1, v16, v0 dst_sel:DWORD dst_unused:UNUSED_PAD src0_sel:WORD_0 src1_sel:DWORD
	v_lshrrev_b32_e32 v52, 17, v1
	v_mul_lo_u16 v1, v51, 3
	v_sub_nc_u16 v53, v28, v1
	v_mul_lo_u16 v1, v52, 3
	v_sub_nc_u16 v54, v16, v1
	v_lshlrev_b16 v1, 1, v53
	v_lshlrev_b16 v4, 1, v54
	v_lshlrev_b32_sdwa v1, v80, v1 dst_sel:DWORD dst_unused:UNUSED_PAD src0_sel:DWORD src1_sel:WORD_0
	v_lshlrev_b32_sdwa v12, v80, v4 dst_sel:DWORD dst_unused:UNUSED_PAD src0_sel:DWORD src1_sel:WORD_0
	ds_read2_b64 v[4:7], v82 offset0:116 offset1:179
	s_clause 0x1
	global_load_dwordx4 v[168:171], v1, s[14:15]
	global_load_dwordx4 v[172:175], v12, s[14:15]
	s_waitcnt lgkmcnt(0)
	v_mul_f32_e32 v13, v5, v165
	v_mul_f32_e32 v56, v4, v165
	v_fma_f32 v55, v4, v164, -v13
	v_fmac_f32_e32 v56, v5, v164
	s_waitcnt vmcnt(1)
	v_mul_f32_e32 v1, v7, v169
	v_mul_f32_e32 v58, v6, v169
	v_fma_f32 v57, v6, v168, -v1
	v_fmac_f32_e32 v58, v7, v168
	ds_read2_b64 v[4:7], v71 offset0:106 offset1:169
	s_waitcnt lgkmcnt(0)
	v_mul_f32_e32 v1, v5, v171
	v_mul_f32_e32 v60, v4, v171
	s_waitcnt vmcnt(0)
	v_mul_f32_e32 v62, v6, v175
	v_fma_f32 v59, v4, v170, -v1
	v_mul_f32_e32 v1, v7, v175
	v_fmac_f32_e32 v60, v5, v170
	v_fmac_f32_e32 v62, v7, v174
	v_fma_f32 v61, v6, v174, -v1
	v_mul_u32_u24_sdwa v1, v24, v0 dst_sel:DWORD dst_unused:UNUSED_PAD src0_sel:WORD_0 src1_sel:DWORD
	v_lshrrev_b32_e32 v63, 17, v1
	v_mul_u32_u24_sdwa v1, v25, v0 dst_sel:DWORD dst_unused:UNUSED_PAD src0_sel:WORD_0 src1_sel:DWORD
	v_mul_u32_u24_sdwa v0, v26, v0 dst_sel:DWORD dst_unused:UNUSED_PAD src0_sel:WORD_0 src1_sel:DWORD
	v_lshrrev_b32_e32 v64, 17, v1
	v_mul_lo_u16 v1, v63, 3
	v_lshrrev_b32_e32 v88, 17, v0
	v_sub_nc_u16 v65, v24, v1
	v_mul_lo_u16 v1, v64, 3
	v_mul_lo_u16 v0, v88, 3
	v_sub_nc_u16 v66, v25, v1
	v_lshlrev_b16 v1, 1, v65
	v_sub_nc_u16 v89, v26, v0
	v_lshlrev_b16 v4, 1, v66
	v_lshlrev_b32_sdwa v1, v80, v1 dst_sel:DWORD dst_unused:UNUSED_PAD src0_sel:DWORD src1_sel:WORD_0
	v_lshlrev_b16 v0, 1, v89
	v_lshlrev_b32_sdwa v12, v80, v4 dst_sel:DWORD dst_unused:UNUSED_PAD src0_sel:DWORD src1_sel:WORD_0
	ds_read2_b64 v[4:7], v76 offset0:114 offset1:177
	s_clause 0x1
	global_load_dwordx4 v[176:179], v1, s[14:15]
	global_load_dwordx4 v[180:183], v12, s[14:15]
	v_lshlrev_b32_sdwa v0, v80, v0 dst_sel:DWORD dst_unused:UNUSED_PAD src0_sel:DWORD src1_sel:WORD_0
	global_load_dwordx4 v[184:187], v0, s[14:15]
	s_waitcnt lgkmcnt(0)
	v_mul_f32_e32 v13, v5, v173
	v_mul_f32_e32 v72, v4, v173
	v_fma_f32 v67, v4, v172, -v13
	v_fmac_f32_e32 v72, v5, v172
	ds_read2_b64 v[12:15], v254 offset1:63
	s_waitcnt vmcnt(2)
	v_mul_f32_e32 v1, v7, v177
	v_mul_f32_e32 v74, v6, v177
	v_fma_f32 v73, v6, v176, -v1
	v_fmac_f32_e32 v74, v7, v176
	ds_read2_b64 v[4:7], v83 offset0:104 offset1:167
	s_waitcnt lgkmcnt(0)
	v_mul_f32_e32 v1, v5, v179
	v_mul_f32_e32 v85, v4, v179
	s_waitcnt vmcnt(1)
	v_mul_f32_e32 v87, v6, v183
	v_fma_f32 v75, v4, v178, -v1
	v_mul_f32_e32 v1, v7, v183
	v_fmac_f32_e32 v85, v5, v178
	v_fmac_f32_e32 v87, v7, v182
	v_fma_f32 v86, v6, v182, -v1
	ds_read2_b64 v[4:7], v77 offset0:112 offset1:175
	s_waitcnt lgkmcnt(0)
	v_mul_f32_e32 v1, v5, v181
	v_mul_f32_e32 v91, v4, v181
	s_waitcnt vmcnt(0)
	v_mul_f32_e32 v0, v7, v185
	v_mul_f32_e32 v93, v6, v185
	v_fma_f32 v90, v4, v180, -v1
	v_fmac_f32_e32 v91, v5, v180
	v_fma_f32 v92, v6, v184, -v0
	v_fmac_f32_e32 v93, v7, v184
	ds_read2_b64 v[4:7], v78 offset0:120 offset1:183
	s_waitcnt lgkmcnt(0)
	v_mul_f32_e32 v0, v7, v153
	v_fma_f32 v18, v6, v152, -v0
	v_mul_f32_e32 v0, v6, v153
	v_add_f32_e32 v6, v18, v19
	v_fmac_f32_e32 v0, v7, v152
	v_sub_f32_e32 v95, v18, v19
	v_fma_f32 v6, -0.5, v6, v12
	v_add_f32_e32 v7, v0, v17
	v_add_f32_e32 v1, v13, v0
	v_sub_f32_e32 v94, v0, v17
	v_add_f32_e32 v0, v12, v18
	v_mul_u32_u24_sdwa v12, v32, v96 dst_sel:DWORD dst_unused:UNUSED_PAD src0_sel:WORD_0 src1_sel:DWORD
	v_fma_f32 v7, -0.5, v7, v13
	v_add_f32_e32 v1, v1, v17
	v_add_f32_e32 v0, v0, v19
	v_add_lshl_u32 v97, v12, v31, 3
	v_fmamk_f32 v12, v94, 0x3f5db3d7, v6
	v_fmamk_f32 v13, v95, 0xbf5db3d7, v7
	v_fmac_f32_e32 v6, 0xbf5db3d7, v94
	v_fmac_f32_e32 v7, 0x3f5db3d7, v95
	ds_read_b64 v[21:22], v254 offset:13104
	ds_read2_b64 v[17:20], v254 offset0:126 offset1:189
	ds_read2_b64 v[29:32], v81 offset0:124 offset1:187
	ds_read2_b64 v[33:36], v230 offset0:122 offset1:185
	s_waitcnt lgkmcnt(0)
	s_barrier
	buffer_gl0_inv
	ds_write2_b64 v97, v[0:1], v[12:13] offset1:3
	ds_write_b64 v97, v[6:7] offset:48
	v_add_f32_e32 v0, v15, v43
	v_add_f32_e32 v6, v43, v39
	;; [unrolled: 1-line block ×3, first 2 shown]
	v_sub_f32_e32 v12, v43, v39
	v_sub_f32_e32 v13, v44, v41
	v_add_f32_e32 v1, v0, v39
	v_add_f32_e32 v0, v14, v44
	v_fma_f32 v14, -0.5, v7, v14
	v_fmac_f32_e32 v15, -0.5, v6
	v_mul_u32_u24_sdwa v6, v27, v96 dst_sel:DWORD dst_unused:UNUSED_PAD src0_sel:WORD_0 src1_sel:DWORD
	buffer_store_dword v97, off, s[20:23], 0 offset:436 ; 4-byte Folded Spill
	v_add_f32_e32 v0, v0, v41
	v_fmamk_f32 v7, v13, 0xbf5db3d7, v15
	v_add_lshl_u32 v27, v6, v38, 3
	v_fmamk_f32 v6, v12, 0x3f5db3d7, v14
	v_fmac_f32_e32 v14, 0xbf5db3d7, v12
	v_fmac_f32_e32 v15, 0x3f5db3d7, v13
	v_mul_u32_u24_sdwa v12, v23, v96 dst_sel:DWORD dst_unused:UNUSED_PAD src0_sel:WORD_0 src1_sel:DWORD
	buffer_store_dword v27, off, s[20:23], 0 offset:440 ; 4-byte Folded Spill
	ds_write2_b64 v27, v[0:1], v[6:7] offset1:3
	v_add_f32_e32 v0, v18, v46
	v_add_f32_e32 v7, v46, v48
	v_add_f32_e32 v6, v45, v47
	ds_write_b64 v27, v[14:15] offset:48
	v_sub_f32_e32 v14, v46, v48
	v_add_f32_e32 v1, v0, v48
	v_add_f32_e32 v0, v17, v45
	v_sub_f32_e32 v15, v45, v47
	v_fma_f32 v6, -0.5, v6, v17
	v_fma_f32 v7, -0.5, v7, v18
	v_add_lshl_u32 v17, v12, v37, 3
	v_add_f32_e32 v0, v0, v47
	v_fmamk_f32 v12, v14, 0x3f5db3d7, v6
	v_fmamk_f32 v13, v15, 0xbf5db3d7, v7
	v_fmac_f32_e32 v6, 0xbf5db3d7, v14
	v_fmac_f32_e32 v7, 0x3f5db3d7, v15
	v_sub_f32_e32 v14, v55, v49
	v_sub_f32_e32 v15, v57, v59
	ds_write2_b64 v17, v[0:1], v[12:13] offset1:3
	v_add_f32_e32 v0, v20, v56
	ds_write_b64 v17, v[6:7] offset:48
	v_add_f32_e32 v7, v56, v50
	v_add_f32_e32 v13, v55, v49
	v_mul_u32_u24_sdwa v6, v40, v96 dst_sel:DWORD dst_unused:UNUSED_PAD src0_sel:WORD_0 src1_sel:DWORD
	v_sub_f32_e32 v12, v56, v50
	v_add_f32_e32 v1, v0, v50
	v_add_f32_e32 v0, v19, v55
	v_fma_f32 v19, -0.5, v13, v19
	v_fmac_f32_e32 v20, -0.5, v7
	v_add_lshl_u32 v13, v6, v42, 3
	buffer_store_dword v17, off, s[20:23], 0 offset:432 ; 4-byte Folded Spill
	v_add_f32_e32 v0, v0, v49
	v_fmamk_f32 v6, v12, 0x3f5db3d7, v19
	v_fmamk_f32 v7, v14, 0xbf5db3d7, v20
	v_fmac_f32_e32 v19, 0xbf5db3d7, v12
	v_fmac_f32_e32 v20, 0x3f5db3d7, v14
	v_mad_u16 v12, v51, 9, v53
	v_sub_f32_e32 v14, v58, v60
	ds_write2_b64 v13, v[0:1], v[6:7] offset1:3
	v_add_f32_e32 v0, v30, v58
	v_add_f32_e32 v7, v58, v60
	;; [unrolled: 1-line block ×3, first 2 shown]
	buffer_store_dword v13, off, s[20:23], 0 offset:428 ; 4-byte Folded Spill
	ds_write_b64 v13, v[19:20] offset:48
	v_add_f32_e32 v1, v0, v60
	v_add_f32_e32 v0, v29, v57
	v_fma_f32 v6, -0.5, v6, v29
	v_fma_f32 v7, -0.5, v7, v30
	v_lshlrev_b32_sdwa v17, v80, v12 dst_sel:DWORD dst_unused:UNUSED_PAD src0_sel:DWORD src1_sel:WORD_0
	v_add_f32_e32 v0, v0, v59
	v_fmamk_f32 v12, v14, 0x3f5db3d7, v6
	v_fmamk_f32 v13, v15, 0xbf5db3d7, v7
	v_fmac_f32_e32 v6, 0xbf5db3d7, v14
	v_fmac_f32_e32 v7, 0x3f5db3d7, v15
	v_sub_f32_e32 v14, v67, v61
	v_sub_f32_e32 v15, v73, v75
	ds_write2_b64 v17, v[0:1], v[12:13] offset1:3
	v_add_f32_e32 v0, v32, v72
	ds_write_b64 v17, v[6:7] offset:48
	v_add_f32_e32 v7, v72, v62
	v_add_f32_e32 v13, v67, v61
	v_mad_u16 v6, v52, 9, v54
	v_sub_f32_e32 v12, v72, v62
	v_add_f32_e32 v1, v0, v62
	v_add_f32_e32 v0, v31, v67
	v_fma_f32 v31, -0.5, v13, v31
	v_fmac_f32_e32 v32, -0.5, v7
	v_lshlrev_b32_sdwa v13, v80, v6 dst_sel:DWORD dst_unused:UNUSED_PAD src0_sel:DWORD src1_sel:WORD_0
	buffer_store_dword v17, off, s[20:23], 0 offset:424 ; 4-byte Folded Spill
	v_add_f32_e32 v0, v0, v61
	v_fmamk_f32 v6, v12, 0x3f5db3d7, v31
	v_fmamk_f32 v7, v14, 0xbf5db3d7, v32
	v_fmac_f32_e32 v31, 0xbf5db3d7, v12
	v_fmac_f32_e32 v32, 0x3f5db3d7, v14
	v_mad_u16 v12, v63, 9, v65
	v_sub_f32_e32 v14, v74, v85
	ds_write2_b64 v13, v[0:1], v[6:7] offset1:3
	v_add_f32_e32 v0, v34, v74
	v_add_f32_e32 v7, v74, v85
	;; [unrolled: 1-line block ×3, first 2 shown]
	buffer_store_dword v13, off, s[20:23], 0 offset:420 ; 4-byte Folded Spill
	ds_write_b64 v13, v[31:32] offset:48
	v_add_f32_e32 v1, v0, v85
	v_add_f32_e32 v0, v33, v73
	v_fma_f32 v6, -0.5, v6, v33
	v_fma_f32 v7, -0.5, v7, v34
	v_lshlrev_b32_sdwa v17, v80, v12 dst_sel:DWORD dst_unused:UNUSED_PAD src0_sel:DWORD src1_sel:WORD_0
	v_add_f32_e32 v0, v0, v75
	v_fmamk_f32 v12, v14, 0x3f5db3d7, v6
	v_fmamk_f32 v13, v15, 0xbf5db3d7, v7
	v_fmac_f32_e32 v6, 0xbf5db3d7, v14
	v_fmac_f32_e32 v7, 0x3f5db3d7, v15
	v_sub_f32_e32 v14, v90, v86
	buffer_store_dword v17, off, s[20:23], 0 offset:416 ; 4-byte Folded Spill
	ds_write2_b64 v17, v[0:1], v[12:13] offset1:3
	v_add_f32_e32 v0, v36, v91
	ds_write_b64 v17, v[6:7] offset:48
	v_add_f32_e32 v7, v91, v87
	v_add_f32_e32 v13, v90, v86
	v_mad_u16 v6, v64, 9, v66
	v_sub_f32_e32 v12, v91, v87
	v_add_f32_e32 v1, v0, v87
	v_add_f32_e32 v0, v35, v90
	v_fma_f32 v35, -0.5, v13, v35
	v_fmac_f32_e32 v36, -0.5, v7
	v_lshlrev_b32_sdwa v13, v80, v6 dst_sel:DWORD dst_unused:UNUSED_PAD src0_sel:DWORD src1_sel:WORD_0
	v_add_f32_e32 v0, v0, v86
	v_fmamk_f32 v6, v12, 0x3f5db3d7, v35
	v_fmamk_f32 v7, v14, 0xbf5db3d7, v36
	v_fmac_f32_e32 v35, 0xbf5db3d7, v12
	v_fmac_f32_e32 v36, 0x3f5db3d7, v14
	buffer_store_dword v13, off, s[20:23], 0 offset:408 ; 4-byte Folded Spill
	ds_write2_b64 v13, v[0:1], v[6:7] offset1:3
	v_mul_f32_e32 v0, v22, v187
	ds_write_b64 v13, v[35:36] offset:48
	v_add_f32_e32 v1, v5, v93
	v_mad_u16 v7, v88, 9, v89
	v_fma_f32 v6, v21, v186, -v0
	v_mul_f32_e32 v0, v21, v187
	v_add_f32_e32 v14, v92, v6
	v_fmac_f32_e32 v0, v22, v186
	v_sub_f32_e32 v15, v92, v6
	v_add_f32_e32 v13, v93, v0
	v_sub_f32_e32 v12, v93, v0
	v_add_f32_e32 v1, v1, v0
	v_add_f32_e32 v0, v4, v92
	v_fma_f32 v4, -0.5, v14, v4
	v_fmac_f32_e32 v5, -0.5, v13
	v_lshlrev_b32_sdwa v13, v80, v7 dst_sel:DWORD dst_unused:UNUSED_PAD src0_sel:DWORD src1_sel:WORD_0
	v_mov_b32_e32 v14, 0xe38f
	v_add_f32_e32 v0, v0, v6
	v_fmamk_f32 v6, v12, 0x3f5db3d7, v4
	v_fmamk_f32 v7, v15, 0xbf5db3d7, v5
	v_fmac_f32_e32 v4, 0xbf5db3d7, v12
	v_fmac_f32_e32 v5, 0x3f5db3d7, v15
	buffer_store_dword v13, off, s[20:23], 0 offset:412 ; 4-byte Folded Spill
	ds_write2_b64 v13, v[0:1], v[6:7] offset1:3
	v_mul_lo_u16 v0, v2, 57
	ds_write_b64 v13, v[4:5] offset:48
	s_waitcnt lgkmcnt(0)
	s_waitcnt_vscnt null, 0x0
	s_barrier
	buffer_gl0_inv
	v_lshrrev_b16 v17, 9, v0
	v_mul_lo_u16 v0, v3, 57
	v_lshrrev_b16 v23, 9, v0
	v_mul_lo_u16 v0, v17, 9
	v_mul_lo_u16 v1, v23, 9
	v_sub_nc_u16 v0, v68, v0
	v_sub_nc_u16 v1, v8, v1
	v_and_b32_e32 v18, 0xff, v0
	v_and_b32_e32 v27, 0xff, v1
	v_lshlrev_b32_e32 v0, 4, v18
	v_lshlrev_b32_e32 v1, 4, v27
	s_clause 0x1
	global_load_dwordx4 v[104:107], v0, s[14:15] offset:48
	global_load_dwordx4 v[108:111], v1, s[14:15] offset:48
	ds_read2_b64 v[4:7], v69 offset0:110 offset1:173
	s_waitcnt vmcnt(1) lgkmcnt(0)
	v_mul_f32_e32 v0, v5, v107
	v_mul_f32_e32 v20, v4, v107
	s_waitcnt vmcnt(0)
	v_mul_f32_e32 v38, v6, v111
	v_fma_f32 v19, v4, v106, -v0
	v_mul_f32_e32 v0, v7, v111
	v_fmac_f32_e32 v20, v5, v106
	v_fmac_f32_e32 v38, v7, v110
	v_fma_f32 v37, v6, v110, -v0
	v_mul_lo_u16 v0, v11, 57
	ds_read2_b64 v[4:7], v70 offset0:118 offset1:181
	v_lshrrev_b16 v39, 9, v0
	v_mul_lo_u16 v0, v10, 57
	v_lshrrev_b16 v40, 9, v0
	v_mul_lo_u16 v0, v39, 9
	v_mul_lo_u16 v1, v40, 9
	v_sub_nc_u16 v0, v9, v0
	v_sub_nc_u16 v1, v142, v1
	v_and_b32_e32 v41, 0xff, v0
	s_waitcnt lgkmcnt(0)
	v_mul_f32_e32 v0, v5, v109
	v_mul_f32_e32 v44, v4, v109
	v_and_b32_e32 v42, 0xff, v1
	v_fma_f32 v43, v4, v108, -v0
	v_lshlrev_b32_e32 v0, 4, v41
	v_fmac_f32_e32 v44, v5, v108
	v_lshlrev_b32_e32 v1, 4, v42
	s_clause 0x1
	global_load_dwordx4 v[112:115], v0, s[14:15] offset:48
	global_load_dwordx4 v[116:119], v1, s[14:15] offset:48
	s_waitcnt vmcnt(1)
	v_mul_f32_e32 v0, v7, v113
	v_mul_f32_e32 v46, v6, v113
	v_fma_f32 v45, v6, v112, -v0
	v_fmac_f32_e32 v46, v7, v112
	ds_read2_b64 v[4:7], v79 offset0:108 offset1:171
	s_waitcnt lgkmcnt(0)
	v_mul_f32_e32 v0, v5, v115
	v_mul_f32_e32 v48, v4, v115
	s_waitcnt vmcnt(0)
	v_mul_f32_e32 v50, v6, v119
	v_fma_f32 v47, v4, v114, -v0
	v_mul_f32_e32 v0, v7, v119
	v_fmac_f32_e32 v48, v5, v114
	v_fmac_f32_e32 v50, v7, v118
	v_fma_f32 v49, v6, v118, -v0
	v_mul_u32_u24_sdwa v0, v28, v14 dst_sel:DWORD dst_unused:UNUSED_PAD src0_sel:WORD_0 src1_sel:DWORD
	v_lshrrev_b32_e32 v51, 19, v0
	v_mul_u32_u24_sdwa v0, v16, v14 dst_sel:DWORD dst_unused:UNUSED_PAD src0_sel:WORD_0 src1_sel:DWORD
	v_lshrrev_b32_e32 v52, 19, v0
	v_mul_lo_u16 v0, v51, 9
	v_sub_nc_u16 v53, v28, v0
	v_mul_lo_u16 v0, v52, 9
	v_sub_nc_u16 v54, v16, v0
	v_lshlrev_b16 v0, 4, v53
	v_lshlrev_b16 v1, 4, v54
	v_and_b32_e32 v0, 0xffff, v0
	v_and_b32_e32 v4, 0xffff, v1
	v_add_co_u32 v0, s0, s14, v0
	v_add_co_ci_u32_e64 v1, null, s15, 0, s0
	v_add_co_u32 v12, s0, s14, v4
	v_add_co_ci_u32_e64 v13, null, s15, 0, s0
	ds_read2_b64 v[4:7], v82 offset0:116 offset1:179
	s_clause 0x1
	global_load_dwordx4 v[120:123], v[0:1], off offset:48
	global_load_dwordx4 v[124:127], v[12:13], off offset:48
	s_waitcnt lgkmcnt(0)
	v_mul_f32_e32 v15, v5, v117
	v_mul_f32_e32 v56, v4, v117
	v_fma_f32 v55, v4, v116, -v15
	v_fmac_f32_e32 v56, v5, v116
	s_waitcnt vmcnt(1)
	v_mul_f32_e32 v0, v7, v121
	v_mul_f32_e32 v58, v6, v121
	v_fma_f32 v57, v6, v120, -v0
	v_fmac_f32_e32 v58, v7, v120
	ds_read2_b64 v[4:7], v71 offset0:106 offset1:169
	s_waitcnt lgkmcnt(0)
	v_mul_f32_e32 v0, v5, v123
	v_mul_f32_e32 v60, v4, v123
	s_waitcnt vmcnt(0)
	v_mul_f32_e32 v62, v6, v127
	v_fma_f32 v59, v4, v122, -v0
	v_mul_f32_e32 v0, v7, v127
	v_fmac_f32_e32 v60, v5, v122
	v_fmac_f32_e32 v62, v7, v126
	v_fma_f32 v61, v6, v126, -v0
	v_mul_u32_u24_sdwa v0, v24, v14 dst_sel:DWORD dst_unused:UNUSED_PAD src0_sel:WORD_0 src1_sel:DWORD
	v_lshrrev_b32_e32 v63, 19, v0
	v_mul_u32_u24_sdwa v0, v25, v14 dst_sel:DWORD dst_unused:UNUSED_PAD src0_sel:WORD_0 src1_sel:DWORD
	v_lshrrev_b32_e32 v64, 19, v0
	v_mul_lo_u16 v0, v63, 9
	v_sub_nc_u16 v65, v24, v0
	v_mul_lo_u16 v0, v64, 9
	v_sub_nc_u16 v66, v25, v0
	v_lshlrev_b16 v0, 4, v65
	v_lshlrev_b16 v1, 4, v66
	v_and_b32_e32 v0, 0xffff, v0
	v_and_b32_e32 v4, 0xffff, v1
	v_add_co_u32 v0, s0, s14, v0
	v_add_co_ci_u32_e64 v1, null, s15, 0, s0
	v_add_co_u32 v12, s0, s14, v4
	v_add_co_ci_u32_e64 v13, null, s15, 0, s0
	ds_read2_b64 v[4:7], v76 offset0:114 offset1:177
	s_clause 0x1
	global_load_dwordx4 v[128:131], v[0:1], off offset:48
	global_load_dwordx4 v[132:135], v[12:13], off offset:48
	s_waitcnt lgkmcnt(0)
	v_mul_f32_e32 v15, v5, v125
	v_mul_f32_e32 v72, v4, v125
	v_fma_f32 v67, v4, v124, -v15
	v_fmac_f32_e32 v72, v5, v124
	s_waitcnt vmcnt(1)
	v_mul_f32_e32 v0, v7, v129
	v_mul_f32_e32 v74, v6, v129
	v_fma_f32 v73, v6, v128, -v0
	v_fmac_f32_e32 v74, v7, v128
	ds_read2_b64 v[4:7], v83 offset0:104 offset1:167
	s_waitcnt lgkmcnt(0)
	v_mul_f32_e32 v0, v5, v131
	v_mul_f32_e32 v85, v4, v131
	s_waitcnt vmcnt(0)
	v_mul_f32_e32 v87, v6, v135
	v_fma_f32 v75, v4, v130, -v0
	v_mul_f32_e32 v0, v7, v135
	v_fmac_f32_e32 v85, v5, v130
	v_fmac_f32_e32 v87, v7, v134
	v_fma_f32 v86, v6, v134, -v0
	v_mul_u32_u24_sdwa v0, v26, v14 dst_sel:DWORD dst_unused:UNUSED_PAD src0_sel:WORD_0 src1_sel:DWORD
	ds_read2_b64 v[4:7], v77 offset0:112 offset1:175
	v_lshrrev_b32_e32 v88, 19, v0
	v_mul_lo_u16 v0, v88, 9
	v_sub_nc_u16 v89, v26, v0
	v_lshlrev_b16 v0, 4, v89
	s_waitcnt lgkmcnt(0)
	v_mul_f32_e32 v12, v5, v133
	v_mul_f32_e32 v91, v4, v133
	v_and_b32_e32 v0, 0xffff, v0
	v_fma_f32 v90, v4, v132, -v12
	v_fmac_f32_e32 v91, v5, v132
	ds_read2_b64 v[12:15], v254 offset1:63
	v_add_co_u32 v0, s0, s14, v0
	v_add_co_ci_u32_e64 v1, null, s15, 0, s0
	global_load_dwordx4 v[136:139], v[0:1], off offset:48
	s_waitcnt vmcnt(0)
	v_mul_f32_e32 v0, v7, v137
	v_mul_f32_e32 v93, v6, v137
	v_fma_f32 v92, v6, v136, -v0
	v_fmac_f32_e32 v93, v7, v136
	ds_read2_b64 v[4:7], v78 offset0:120 offset1:183
	s_waitcnt lgkmcnt(0)
	v_mul_f32_e32 v0, v7, v105
	v_fma_f32 v21, v6, v104, -v0
	v_mul_f32_e32 v0, v6, v105
	v_add_f32_e32 v6, v21, v19
	v_fmac_f32_e32 v0, v7, v104
	v_sub_f32_e32 v95, v21, v19
	v_fma_f32 v6, -0.5, v6, v12
	v_add_f32_e32 v1, v13, v0
	v_sub_f32_e32 v94, v0, v20
	v_add_f32_e32 v7, v0, v20
	v_add_f32_e32 v0, v12, v21
	v_mul_lo_u16 v12, v17, 27
	v_add_f32_e32 v1, v1, v20
	v_fma_f32 v7, -0.5, v7, v13
	v_add_f32_e32 v0, v0, v19
	v_and_b32_e32 v12, 0xff, v12
	v_fmamk_f32 v13, v95, 0xbf5db3d7, v7
	v_fmac_f32_e32 v7, 0x3f5db3d7, v95
	v_add_lshl_u32 v96, v12, v18, 3
	v_fmamk_f32 v12, v94, 0x3f5db3d7, v6
	ds_read_b64 v[21:22], v254 offset:13104
	ds_read2_b64 v[17:20], v254 offset0:126 offset1:189
	ds_read2_b64 v[29:32], v81 offset0:124 offset1:187
	;; [unrolled: 1-line block ×3, first 2 shown]
	s_waitcnt lgkmcnt(0)
	s_barrier
	buffer_gl0_inv
	ds_write2_b64 v96, v[0:1], v[12:13] offset1:9
	v_add_f32_e32 v0, v15, v44
	v_fmac_f32_e32 v6, 0xbf5db3d7, v94
	v_sub_f32_e32 v13, v43, v37
	v_sub_f32_e32 v12, v44, v38
	buffer_store_dword v96, off, s[20:23], 0 offset:396 ; 4-byte Folded Spill
	v_add_f32_e32 v1, v0, v38
	v_add_f32_e32 v0, v14, v43
	ds_write_b64 v96, v[6:7] offset:144
	v_add_f32_e32 v6, v44, v38
	v_add_f32_e32 v7, v43, v37
	;; [unrolled: 1-line block ×3, first 2 shown]
	v_mov_b32_e32 v37, 27
	v_fmac_f32_e32 v15, -0.5, v6
	v_fma_f32 v14, -0.5, v7, v14
	v_mul_u32_u24_sdwa v6, v23, v37 dst_sel:DWORD dst_unused:UNUSED_PAD src0_sel:WORD_0 src1_sel:DWORD
	v_fmamk_f32 v7, v13, 0xbf5db3d7, v15
	v_fmac_f32_e32 v15, 0x3f5db3d7, v13
	v_add_lshl_u32 v23, v6, v27, 3
	v_fmamk_f32 v6, v12, 0x3f5db3d7, v14
	v_fmac_f32_e32 v14, 0xbf5db3d7, v12
	v_mul_u32_u24_sdwa v12, v39, v37 dst_sel:DWORD dst_unused:UNUSED_PAD src0_sel:WORD_0 src1_sel:DWORD
	buffer_store_dword v23, off, s[20:23], 0 offset:404 ; 4-byte Folded Spill
	ds_write2_b64 v23, v[0:1], v[6:7] offset1:9
	v_add_f32_e32 v0, v18, v46
	v_add_f32_e32 v7, v46, v48
	;; [unrolled: 1-line block ×3, first 2 shown]
	ds_write_b64 v23, v[14:15] offset:144
	v_sub_f32_e32 v14, v46, v48
	v_add_f32_e32 v1, v0, v48
	v_add_f32_e32 v0, v17, v45
	v_sub_f32_e32 v15, v45, v47
	v_fma_f32 v6, -0.5, v6, v17
	v_fma_f32 v7, -0.5, v7, v18
	v_add_lshl_u32 v17, v12, v41, 3
	v_add_f32_e32 v0, v0, v47
	v_fmamk_f32 v12, v14, 0x3f5db3d7, v6
	v_fmamk_f32 v13, v15, 0xbf5db3d7, v7
	v_fmac_f32_e32 v6, 0xbf5db3d7, v14
	v_fmac_f32_e32 v7, 0x3f5db3d7, v15
	v_sub_f32_e32 v14, v55, v49
	v_sub_f32_e32 v15, v57, v59
	ds_write2_b64 v17, v[0:1], v[12:13] offset1:9
	v_add_f32_e32 v0, v20, v56
	ds_write_b64 v17, v[6:7] offset:144
	v_add_f32_e32 v7, v56, v50
	v_add_f32_e32 v13, v55, v49
	v_mul_u32_u24_sdwa v6, v40, v37 dst_sel:DWORD dst_unused:UNUSED_PAD src0_sel:WORD_0 src1_sel:DWORD
	v_sub_f32_e32 v12, v56, v50
	v_add_f32_e32 v1, v0, v50
	v_add_f32_e32 v0, v19, v55
	v_fma_f32 v19, -0.5, v13, v19
	v_fmac_f32_e32 v20, -0.5, v7
	v_add_lshl_u32 v13, v6, v42, 3
	buffer_store_dword v17, off, s[20:23], 0 offset:400 ; 4-byte Folded Spill
	v_add_f32_e32 v0, v0, v49
	v_fmamk_f32 v6, v12, 0x3f5db3d7, v19
	v_fmamk_f32 v7, v14, 0xbf5db3d7, v20
	v_fmac_f32_e32 v19, 0xbf5db3d7, v12
	v_fmac_f32_e32 v20, 0x3f5db3d7, v14
	v_mad_u16 v12, v51, 27, v53
	v_sub_f32_e32 v14, v58, v60
	ds_write2_b64 v13, v[0:1], v[6:7] offset1:9
	v_add_f32_e32 v0, v30, v58
	v_add_f32_e32 v7, v58, v60
	;; [unrolled: 1-line block ×3, first 2 shown]
	buffer_store_dword v13, off, s[20:23], 0 offset:392 ; 4-byte Folded Spill
	ds_write_b64 v13, v[19:20] offset:144
	v_add_f32_e32 v1, v0, v60
	v_add_f32_e32 v0, v29, v57
	v_fma_f32 v6, -0.5, v6, v29
	v_fma_f32 v7, -0.5, v7, v30
	v_lshlrev_b32_sdwa v17, v80, v12 dst_sel:DWORD dst_unused:UNUSED_PAD src0_sel:DWORD src1_sel:WORD_0
	v_add_f32_e32 v0, v0, v59
	v_fmamk_f32 v12, v14, 0x3f5db3d7, v6
	v_fmamk_f32 v13, v15, 0xbf5db3d7, v7
	v_fmac_f32_e32 v6, 0xbf5db3d7, v14
	v_fmac_f32_e32 v7, 0x3f5db3d7, v15
	v_sub_f32_e32 v14, v67, v61
	v_sub_f32_e32 v15, v73, v75
	ds_write2_b64 v17, v[0:1], v[12:13] offset1:9
	v_add_f32_e32 v0, v32, v72
	ds_write_b64 v17, v[6:7] offset:144
	v_add_f32_e32 v7, v72, v62
	v_add_f32_e32 v13, v67, v61
	v_mad_u16 v6, v52, 27, v54
	v_sub_f32_e32 v12, v72, v62
	v_add_f32_e32 v1, v0, v62
	v_add_f32_e32 v0, v31, v67
	v_fma_f32 v31, -0.5, v13, v31
	v_fmac_f32_e32 v32, -0.5, v7
	v_lshlrev_b32_sdwa v13, v80, v6 dst_sel:DWORD dst_unused:UNUSED_PAD src0_sel:DWORD src1_sel:WORD_0
	buffer_store_dword v17, off, s[20:23], 0 offset:388 ; 4-byte Folded Spill
	v_add_f32_e32 v0, v0, v61
	v_fmamk_f32 v6, v12, 0x3f5db3d7, v31
	v_fmamk_f32 v7, v14, 0xbf5db3d7, v32
	v_fmac_f32_e32 v31, 0xbf5db3d7, v12
	v_fmac_f32_e32 v32, 0x3f5db3d7, v14
	v_mad_u16 v12, v63, 27, v65
	v_sub_f32_e32 v14, v74, v85
	ds_write2_b64 v13, v[0:1], v[6:7] offset1:9
	v_add_f32_e32 v0, v34, v74
	v_add_f32_e32 v7, v74, v85
	;; [unrolled: 1-line block ×3, first 2 shown]
	buffer_store_dword v13, off, s[20:23], 0 offset:384 ; 4-byte Folded Spill
	ds_write_b64 v13, v[31:32] offset:144
	v_add_f32_e32 v1, v0, v85
	v_add_f32_e32 v0, v33, v73
	v_fma_f32 v6, -0.5, v6, v33
	v_fma_f32 v7, -0.5, v7, v34
	v_lshlrev_b32_sdwa v17, v80, v12 dst_sel:DWORD dst_unused:UNUSED_PAD src0_sel:DWORD src1_sel:WORD_0
	v_add_f32_e32 v0, v0, v75
	v_fmamk_f32 v12, v14, 0x3f5db3d7, v6
	v_fmamk_f32 v13, v15, 0xbf5db3d7, v7
	v_fmac_f32_e32 v6, 0xbf5db3d7, v14
	v_fmac_f32_e32 v7, 0x3f5db3d7, v15
	v_sub_f32_e32 v14, v90, v86
	buffer_store_dword v17, off, s[20:23], 0 offset:372 ; 4-byte Folded Spill
	ds_write2_b64 v17, v[0:1], v[12:13] offset1:9
	v_add_f32_e32 v0, v36, v91
	ds_write_b64 v17, v[6:7] offset:144
	v_add_f32_e32 v7, v91, v87
	v_add_f32_e32 v13, v90, v86
	v_mad_u16 v6, v64, 27, v66
	v_sub_f32_e32 v12, v91, v87
	v_add_f32_e32 v1, v0, v87
	v_add_f32_e32 v0, v35, v90
	v_fma_f32 v35, -0.5, v13, v35
	v_fmac_f32_e32 v36, -0.5, v7
	v_lshlrev_b32_sdwa v13, v80, v6 dst_sel:DWORD dst_unused:UNUSED_PAD src0_sel:DWORD src1_sel:WORD_0
	v_mov_b32_e32 v17, 0x2f69
	v_add_f32_e32 v0, v0, v86
	v_fmamk_f32 v6, v12, 0x3f5db3d7, v35
	v_fmamk_f32 v7, v14, 0xbf5db3d7, v36
	v_fmac_f32_e32 v35, 0xbf5db3d7, v12
	v_fmac_f32_e32 v36, 0x3f5db3d7, v14
	buffer_store_dword v13, off, s[20:23], 0 offset:376 ; 4-byte Folded Spill
	ds_write2_b64 v13, v[0:1], v[6:7] offset1:9
	v_mul_f32_e32 v0, v22, v139
	ds_write_b64 v13, v[35:36] offset:144
	v_add_f32_e32 v1, v5, v93
	v_mad_u16 v7, v88, 27, v89
	v_fma_f32 v6, v21, v138, -v0
	v_mul_f32_e32 v0, v21, v139
	v_add_f32_e32 v14, v92, v6
	v_fmac_f32_e32 v0, v22, v138
	v_sub_f32_e32 v15, v92, v6
	v_add_f32_e32 v13, v93, v0
	v_sub_f32_e32 v12, v93, v0
	v_add_f32_e32 v1, v1, v0
	v_add_f32_e32 v0, v4, v92
	v_fma_f32 v4, -0.5, v14, v4
	v_fmac_f32_e32 v5, -0.5, v13
	v_lshlrev_b32_sdwa v13, v80, v7 dst_sel:DWORD dst_unused:UNUSED_PAD src0_sel:DWORD src1_sel:WORD_0
	v_add_f32_e32 v0, v0, v6
	v_fmamk_f32 v6, v12, 0x3f5db3d7, v4
	v_fmamk_f32 v7, v15, 0xbf5db3d7, v5
	v_fmac_f32_e32 v4, 0xbf5db3d7, v12
	v_fmac_f32_e32 v5, 0x3f5db3d7, v15
	buffer_store_dword v13, off, s[20:23], 0 offset:380 ; 4-byte Folded Spill
	ds_write2_b64 v13, v[0:1], v[6:7] offset1:9
	v_mul_lo_u16 v0, v2, 19
	v_mul_lo_u16 v1, v3, 19
	ds_write_b64 v13, v[4:5] offset:144
	s_waitcnt lgkmcnt(0)
	s_waitcnt_vscnt null, 0x0
	s_barrier
	v_lshrrev_b16 v12, 9, v0
	v_lshrrev_b16 v23, 9, v1
	buffer_gl0_inv
	v_mul_lo_u16 v0, v12, 27
	v_mul_lo_u16 v1, v23, 27
	;; [unrolled: 1-line block ×3, first 2 shown]
	v_sub_nc_u16 v0, v68, v0
	v_sub_nc_u16 v1, v8, v1
	v_and_b32_e32 v12, 0xff, v12
	v_and_b32_e32 v13, 0xff, v0
	;; [unrolled: 1-line block ×3, first 2 shown]
	v_lshlrev_b32_e32 v0, 4, v13
	v_lshlrev_b32_e32 v1, 4, v27
	s_clause 0x1
	global_load_dwordx4 v[72:75], v0, s[14:15] offset:192
	global_load_dwordx4 v[60:63], v1, s[14:15] offset:192
	ds_read2_b64 v[0:3], v69 offset0:110 offset1:173
	v_add_lshl_u32 v204, v12, v13, 3
	s_waitcnt vmcnt(1) lgkmcnt(0)
	v_mul_f32_e32 v4, v1, v75
	v_mul_f32_e32 v15, v0, v75
	s_waitcnt vmcnt(0)
	v_mul_f32_e32 v85, v2, v63
	v_fma_f32 v14, v0, v74, -v4
	v_mul_f32_e32 v0, v3, v63
	v_fmac_f32_e32 v15, v1, v74
	v_fmac_f32_e32 v85, v3, v62
	v_fma_f32 v35, v2, v62, -v0
	v_mul_lo_u16 v0, v11, 19
	v_lshrrev_b16 v86, 9, v0
	v_mul_lo_u16 v0, v10, 19
	v_lshrrev_b16 v87, 9, v0
	v_mul_lo_u16 v0, v86, 27
	v_mul_lo_u16 v1, v87, 27
	v_sub_nc_u16 v0, v9, v0
	v_sub_nc_u16 v1, v142, v1
	v_and_b32_e32 v88, 0xff, v0
	v_and_b32_e32 v89, 0xff, v1
	ds_read2_b64 v[0:3], v70 offset0:118 offset1:181
	s_waitcnt lgkmcnt(0)
	v_mul_f32_e32 v4, v1, v61
	v_mul_f32_e32 v91, v0, v61
	v_fma_f32 v90, v0, v60, -v4
	v_lshlrev_b32_e32 v0, 4, v88
	v_fmac_f32_e32 v91, v1, v60
	v_lshlrev_b32_e32 v1, 4, v89
	s_clause 0x1
	global_load_dwordx4 v[64:67], v0, s[14:15] offset:192
	global_load_dwordx4 v[48:51], v1, s[14:15] offset:192
	s_waitcnt vmcnt(1)
	v_mul_f32_e32 v0, v3, v65
	v_mul_f32_e32 v93, v2, v65
	v_fma_f32 v92, v2, v64, -v0
	v_fmac_f32_e32 v93, v3, v64
	ds_read2_b64 v[0:3], v79 offset0:108 offset1:171
	s_waitcnt lgkmcnt(0)
	v_mul_f32_e32 v4, v1, v67
	v_mul_f32_e32 v95, v0, v67
	s_waitcnt vmcnt(0)
	v_mul_f32_e32 v97, v2, v51
	v_fma_f32 v94, v0, v66, -v4
	v_mul_f32_e32 v0, v3, v51
	v_fmac_f32_e32 v95, v1, v66
	v_fmac_f32_e32 v97, v3, v50
	v_fma_f32 v96, v2, v50, -v0
	v_mul_u32_u24_sdwa v0, v28, v17 dst_sel:DWORD dst_unused:UNUSED_PAD src0_sel:WORD_0 src1_sel:DWORD
	v_lshrrev_b32_e32 v0, 16, v0
	v_sub_nc_u16 v1, v28, v0
	v_lshrrev_b16 v1, 1, v1
	v_add_nc_u16 v0, v1, v0
	v_mul_u32_u24_sdwa v1, v16, v17 dst_sel:DWORD dst_unused:UNUSED_PAD src0_sel:WORD_0 src1_sel:DWORD
	v_lshrrev_b16 v98, 4, v0
	v_lshrrev_b32_e32 v1, 16, v1
	v_mul_lo_u16 v0, v98, 27
	v_sub_nc_u16 v2, v16, v1
	v_sub_nc_u16 v100, v28, v0
	v_lshrrev_b16 v2, 1, v2
	v_add_nc_u16 v1, v2, v1
	v_lshrrev_b16 v99, 4, v1
	v_mul_lo_u16 v0, v99, 27
	v_sub_nc_u16 v101, v16, v0
	v_lshlrev_b16 v0, 4, v100
	v_lshlrev_b16 v1, 4, v101
	v_and_b32_e32 v0, 0xffff, v0
	v_and_b32_e32 v1, 0xffff, v1
	v_add_co_u32 v4, s0, s14, v0
	v_add_co_ci_u32_e64 v5, null, s15, 0, s0
	v_add_co_u32 v6, s0, s14, v1
	v_add_co_ci_u32_e64 v7, null, s15, 0, s0
	ds_read2_b64 v[0:3], v82 offset0:116 offset1:179
	s_clause 0x1
	global_load_dwordx4 v[56:59], v[4:5], off offset:192
	global_load_dwordx4 v[40:43], v[6:7], off offset:192
	s_waitcnt lgkmcnt(0)
	v_mul_f32_e32 v18, v1, v49
	v_mul_f32_e32 v103, v0, v49
	v_fma_f32 v102, v0, v48, -v18
	v_fmac_f32_e32 v103, v1, v48
	s_waitcnt vmcnt(1)
	v_mul_f32_e32 v0, v3, v57
	v_mul_f32_e32 v141, v2, v57
	v_fma_f32 v140, v2, v56, -v0
	v_fmac_f32_e32 v141, v3, v56
	ds_read2_b64 v[0:3], v71 offset0:106 offset1:169
	s_waitcnt lgkmcnt(0)
	v_mul_f32_e32 v4, v1, v59
	v_mul_f32_e32 v144, v0, v59
	s_waitcnt vmcnt(0)
	v_mul_f32_e32 v146, v2, v43
	v_fma_f32 v143, v0, v58, -v4
	v_mul_f32_e32 v0, v3, v43
	v_fmac_f32_e32 v144, v1, v58
	v_fmac_f32_e32 v146, v3, v42
	v_fma_f32 v145, v2, v42, -v0
	v_mul_u32_u24_sdwa v0, v24, v17 dst_sel:DWORD dst_unused:UNUSED_PAD src0_sel:WORD_0 src1_sel:DWORD
	v_lshrrev_b32_e32 v0, 16, v0
	v_sub_nc_u16 v1, v24, v0
	v_lshrrev_b16 v1, 1, v1
	v_add_nc_u16 v0, v1, v0
	v_mul_u32_u24_sdwa v1, v25, v17 dst_sel:DWORD dst_unused:UNUSED_PAD src0_sel:WORD_0 src1_sel:DWORD
	v_lshrrev_b16 v147, 4, v0
	v_lshrrev_b32_e32 v1, 16, v1
	v_mul_lo_u16 v0, v147, 27
	v_sub_nc_u16 v2, v25, v1
	v_sub_nc_u16 v149, v24, v0
	v_lshrrev_b16 v2, 1, v2
	v_add_nc_u16 v1, v2, v1
	v_lshrrev_b16 v148, 4, v1
	v_mul_lo_u16 v0, v148, 27
	v_sub_nc_u16 v150, v25, v0
	v_lshlrev_b16 v0, 4, v149
	v_lshlrev_b16 v1, 4, v150
	v_and_b32_e32 v0, 0xffff, v0
	v_and_b32_e32 v1, 0xffff, v1
	v_add_co_u32 v4, s0, s14, v0
	v_add_co_ci_u32_e64 v5, null, s15, 0, s0
	v_add_co_u32 v6, s0, s14, v1
	v_add_co_ci_u32_e64 v7, null, s15, 0, s0
	ds_read2_b64 v[0:3], v76 offset0:114 offset1:177
	s_clause 0x1
	global_load_dwordx4 v[52:55], v[4:5], off offset:192
	global_load_dwordx4 v[36:39], v[6:7], off offset:192
	s_waitcnt lgkmcnt(0)
	v_mul_f32_e32 v18, v1, v41
	v_mul_f32_e32 v188, v0, v41
	v_fma_f32 v151, v0, v40, -v18
	v_fmac_f32_e32 v188, v1, v40
	s_waitcnt vmcnt(1)
	v_mul_f32_e32 v0, v3, v53
	v_mul_f32_e32 v190, v2, v53
	v_fma_f32 v189, v2, v52, -v0
	v_fmac_f32_e32 v190, v3, v52
	ds_read2_b64 v[0:3], v83 offset0:104 offset1:167
	s_waitcnt lgkmcnt(0)
	v_mul_f32_e32 v4, v1, v55
	v_mul_f32_e32 v192, v0, v55
	s_waitcnt vmcnt(0)
	v_mul_f32_e32 v194, v2, v39
	v_fma_f32 v191, v0, v54, -v4
	v_mul_f32_e32 v0, v3, v39
	v_fmac_f32_e32 v192, v1, v54
	v_fmac_f32_e32 v194, v3, v38
	v_fma_f32 v193, v2, v38, -v0
	v_mul_u32_u24_sdwa v0, v26, v17 dst_sel:DWORD dst_unused:UNUSED_PAD src0_sel:WORD_0 src1_sel:DWORD
	v_lshrrev_b32_e32 v0, 16, v0
	v_sub_nc_u16 v1, v26, v0
	v_lshrrev_b16 v1, 1, v1
	v_add_nc_u16 v0, v1, v0
	v_lshrrev_b16 v195, 4, v0
	v_mul_lo_u16 v0, v195, 27
	v_sub_nc_u16 v196, v26, v0
	v_lshlrev_b16 v0, 4, v196
	v_and_b32_e32 v0, 0xffff, v0
	v_add_co_u32 v4, s0, s14, v0
	v_add_co_ci_u32_e64 v5, null, s15, 0, s0
	ds_read2_b64 v[0:3], v77 offset0:112 offset1:175
	global_load_dwordx4 v[44:47], v[4:5], off offset:192
	s_waitcnt lgkmcnt(0)
	v_mul_f32_e32 v6, v1, v37
	v_mul_f32_e32 v198, v0, v37
	v_fma_f32 v197, v0, v36, -v6
	v_fmac_f32_e32 v198, v1, v36
	s_waitcnt vmcnt(0)
	v_mul_f32_e32 v0, v3, v45
	v_mul_f32_e32 v200, v2, v45
	v_fma_f32 v199, v2, v44, -v0
	v_fmac_f32_e32 v200, v3, v44
	ds_read2_b64 v[0:3], v78 offset0:120 offset1:183
	s_waitcnt lgkmcnt(0)
	v_mul_f32_e32 v4, v3, v73
	v_mul_f32_e32 v6, v2, v73
	v_fma_f32 v17, v2, v72, -v4
	v_fmac_f32_e32 v6, v3, v72
	ds_read2_b64 v[2:5], v254 offset1:63
	v_sub_f32_e32 v202, v17, v14
	v_sub_f32_e32 v201, v6, v15
	v_add_f32_e32 v18, v6, v15
	s_waitcnt lgkmcnt(0)
	v_add_f32_e32 v7, v3, v6
	v_add_f32_e32 v6, v2, v17
	v_fma_f32 v3, -0.5, v18, v3
	v_add_f32_e32 v7, v7, v15
	v_add_f32_e32 v15, v17, v14
	v_fmamk_f32 v22, v202, 0xbf5db3d7, v3
	v_fmac_f32_e32 v3, 0x3f5db3d7, v202
	v_add_f32_e32 v6, v6, v14
	v_fma_f32 v2, -0.5, v15, v2
	ds_read_b64 v[33:34], v254 offset:13104
	ds_read2_b64 v[12:15], v254 offset0:126 offset1:189
	ds_read2_b64 v[17:20], v81 offset0:124 offset1:187
	;; [unrolled: 1-line block ×3, first 2 shown]
	s_waitcnt lgkmcnt(0)
	s_barrier
	buffer_gl0_inv
	v_fmamk_f32 v21, v201, 0x3f5db3d7, v2
	v_fmac_f32_e32 v2, 0xbf5db3d7, v201
	buffer_store_dword v204, off, s[20:23], 0 offset:336 ; 4-byte Folded Spill
	ds_write2_b64 v204, v[6:7], v[21:22] offset1:27
	ds_write_b64 v204, v[2:3] offset:432
	v_add_f32_e32 v2, v5, v91
	v_add_f32_e32 v6, v91, v85
	;; [unrolled: 1-line block ×3, first 2 shown]
	v_sub_f32_e32 v22, v90, v35
	v_sub_f32_e32 v21, v91, v85
	v_add_f32_e32 v3, v2, v85
	v_add_f32_e32 v2, v4, v90
	v_fma_f32 v4, -0.5, v7, v4
	v_fmac_f32_e32 v5, -0.5, v6
	v_add_f32_e32 v2, v2, v35
	v_mov_b32_e32 v35, 0x51
	v_fmamk_f32 v7, v22, 0xbf5db3d7, v5
	v_fmac_f32_e32 v5, 0x3f5db3d7, v22
	v_sub_f32_e32 v22, v92, v94
	v_mul_u32_u24_sdwa v6, v23, v35 dst_sel:DWORD dst_unused:UNUSED_PAD src0_sel:WORD_0 src1_sel:DWORD
	v_add_lshl_u32 v23, v6, v27, 3
	v_fmamk_f32 v6, v21, 0x3f5db3d7, v4
	v_fmac_f32_e32 v4, 0xbf5db3d7, v21
	v_sub_f32_e32 v21, v93, v95
	buffer_store_dword v23, off, s[20:23], 0 offset:316 ; 4-byte Folded Spill
	ds_write2_b64 v23, v[2:3], v[6:7] offset1:27
	ds_write_b64 v23, v[4:5] offset:432
	v_add_f32_e32 v2, v13, v93
	v_add_f32_e32 v5, v93, v95
	;; [unrolled: 1-line block ×3, first 2 shown]
	v_mul_u32_u24_sdwa v6, v86, v35 dst_sel:DWORD dst_unused:UNUSED_PAD src0_sel:WORD_0 src1_sel:DWORD
	v_add_f32_e32 v3, v2, v95
	v_add_f32_e32 v2, v12, v92
	v_fma_f32 v4, -0.5, v4, v12
	v_fma_f32 v5, -0.5, v5, v13
	v_add_lshl_u32 v12, v6, v88, 3
	v_sub_f32_e32 v13, v140, v143
	v_add_f32_e32 v2, v2, v94
	v_fmamk_f32 v6, v21, 0x3f5db3d7, v4
	v_fmamk_f32 v7, v22, 0xbf5db3d7, v5
	v_fmac_f32_e32 v4, 0xbf5db3d7, v21
	v_fmac_f32_e32 v5, 0x3f5db3d7, v22
	buffer_store_dword v12, off, s[20:23], 0 offset:240 ; 4-byte Folded Spill
	ds_write2_b64 v12, v[2:3], v[6:7] offset1:27
	v_add_f32_e32 v2, v15, v103
	ds_write_b64 v12, v[4:5] offset:432
	v_add_f32_e32 v5, v103, v97
	v_add_f32_e32 v7, v102, v96
	v_mul_u32_u24_sdwa v4, v87, v35 dst_sel:DWORD dst_unused:UNUSED_PAD src0_sel:WORD_0 src1_sel:DWORD
	v_sub_f32_e32 v6, v103, v97
	v_add_f32_e32 v3, v2, v97
	v_add_f32_e32 v2, v14, v102
	v_sub_f32_e32 v12, v102, v96
	v_fma_f32 v14, -0.5, v7, v14
	v_fmac_f32_e32 v15, -0.5, v5
	v_add_lshl_u32 v7, v4, v89, 3
	v_add_f32_e32 v2, v2, v96
	v_fmamk_f32 v4, v6, 0x3f5db3d7, v14
	v_fmamk_f32 v5, v12, 0xbf5db3d7, v15
	v_fmac_f32_e32 v14, 0xbf5db3d7, v6
	v_fmac_f32_e32 v15, 0x3f5db3d7, v12
	v_mad_u16 v6, 0x51, v98, v100
	v_sub_f32_e32 v12, v141, v144
	ds_write2_b64 v7, v[2:3], v[4:5] offset1:27
	v_add_f32_e32 v2, v18, v141
	v_add_f32_e32 v5, v141, v144
	;; [unrolled: 1-line block ×3, first 2 shown]
	buffer_store_dword v7, off, s[20:23], 0 offset:244 ; 4-byte Folded Spill
	ds_write_b64 v7, v[14:15] offset:432
	v_add_f32_e32 v3, v2, v144
	v_add_f32_e32 v2, v17, v140
	v_fma_f32 v4, -0.5, v4, v17
	v_fma_f32 v5, -0.5, v5, v18
	v_lshlrev_b32_sdwa v14, v80, v6 dst_sel:DWORD dst_unused:UNUSED_PAD src0_sel:DWORD src1_sel:WORD_0
	v_add_f32_e32 v2, v2, v143
	v_fmamk_f32 v6, v12, 0x3f5db3d7, v4
	v_fmamk_f32 v7, v13, 0xbf5db3d7, v5
	v_fmac_f32_e32 v4, 0xbf5db3d7, v12
	v_fmac_f32_e32 v5, 0x3f5db3d7, v13
	v_sub_f32_e32 v12, v151, v145
	v_sub_f32_e32 v13, v189, v191
	ds_write2_b64 v14, v[2:3], v[6:7] offset1:27
	v_add_f32_e32 v2, v20, v188
	ds_write_b64 v14, v[4:5] offset:432
	v_add_f32_e32 v5, v188, v146
	v_add_f32_e32 v7, v151, v145
	v_mad_u16 v4, 0x51, v99, v101
	v_sub_f32_e32 v6, v188, v146
	v_add_f32_e32 v3, v2, v146
	v_add_f32_e32 v2, v19, v151
	v_fma_f32 v19, -0.5, v7, v19
	v_fmac_f32_e32 v20, -0.5, v5
	v_lshlrev_b32_sdwa v7, v80, v4 dst_sel:DWORD dst_unused:UNUSED_PAD src0_sel:DWORD src1_sel:WORD_0
	buffer_store_dword v14, off, s[20:23], 0 offset:264 ; 4-byte Folded Spill
	v_add_f32_e32 v2, v2, v145
	v_fmamk_f32 v4, v6, 0x3f5db3d7, v19
	v_fmamk_f32 v5, v12, 0xbf5db3d7, v20
	v_fmac_f32_e32 v19, 0xbf5db3d7, v6
	v_fmac_f32_e32 v20, 0x3f5db3d7, v12
	v_mad_u16 v6, 0x51, v147, v149
	v_sub_f32_e32 v12, v190, v192
	ds_write2_b64 v7, v[2:3], v[4:5] offset1:27
	v_add_f32_e32 v2, v30, v190
	v_add_f32_e32 v5, v190, v192
	;; [unrolled: 1-line block ×3, first 2 shown]
	buffer_store_dword v7, off, s[20:23], 0 offset:268 ; 4-byte Folded Spill
	ds_write_b64 v7, v[19:20] offset:432
	v_add_f32_e32 v3, v2, v192
	v_add_f32_e32 v2, v29, v189
	v_fma_f32 v4, -0.5, v4, v29
	v_fma_f32 v5, -0.5, v5, v30
	v_lshlrev_b32_sdwa v14, v80, v6 dst_sel:DWORD dst_unused:UNUSED_PAD src0_sel:DWORD src1_sel:WORD_0
	v_add_f32_e32 v2, v2, v191
	v_fmamk_f32 v6, v12, 0x3f5db3d7, v4
	v_fmamk_f32 v7, v13, 0xbf5db3d7, v5
	v_fmac_f32_e32 v4, 0xbf5db3d7, v12
	v_fmac_f32_e32 v5, 0x3f5db3d7, v13
	v_sub_f32_e32 v12, v197, v193
	buffer_store_dword v14, off, s[20:23], 0 offset:288 ; 4-byte Folded Spill
	ds_write2_b64 v14, v[2:3], v[6:7] offset1:27
	v_add_f32_e32 v2, v32, v198
	ds_write_b64 v14, v[4:5] offset:432
	v_add_f32_e32 v5, v198, v194
	v_add_f32_e32 v7, v197, v193
	v_mad_u16 v4, 0x51, v148, v150
	v_sub_f32_e32 v6, v198, v194
	v_add_f32_e32 v3, v2, v194
	v_add_f32_e32 v2, v31, v197
	v_fma_f32 v31, -0.5, v7, v31
	v_fmac_f32_e32 v32, -0.5, v5
	v_lshlrev_b32_sdwa v7, v80, v4 dst_sel:DWORD dst_unused:UNUSED_PAD src0_sel:DWORD src1_sel:WORD_0
	v_add_f32_e32 v2, v2, v193
	v_fmamk_f32 v4, v6, 0x3f5db3d7, v31
	v_fmamk_f32 v5, v12, 0xbf5db3d7, v32
	v_fmac_f32_e32 v31, 0xbf5db3d7, v6
	v_fmac_f32_e32 v32, 0x3f5db3d7, v12
	buffer_store_dword v7, off, s[20:23], 0 offset:292 ; 4-byte Folded Spill
	ds_write2_b64 v7, v[2:3], v[4:5] offset1:27
	v_mul_f32_e32 v2, v34, v47
	ds_write_b64 v7, v[31:32] offset:432
	v_add_f32_e32 v3, v1, v200
	v_mad_u16 v5, 0x51, v195, v196
	v_fma_f32 v4, v33, v46, -v2
	v_mul_f32_e32 v2, v33, v47
	v_mov_b32_e32 v33, 0x6523
	v_add_f32_e32 v12, v199, v4
	v_fmac_f32_e32 v2, v34, v46
	v_sub_f32_e32 v13, v199, v4
	v_add_f32_e32 v7, v200, v2
	v_sub_f32_e32 v6, v200, v2
	v_add_f32_e32 v3, v3, v2
	v_add_f32_e32 v2, v0, v199
	v_fma_f32 v0, -0.5, v12, v0
	v_fmac_f32_e32 v1, -0.5, v7
	v_lshlrev_b32_sdwa v7, v80, v5 dst_sel:DWORD dst_unused:UNUSED_PAD src0_sel:DWORD src1_sel:WORD_0
	v_add_f32_e32 v2, v2, v4
	v_fmamk_f32 v4, v6, 0x3f5db3d7, v0
	v_fmamk_f32 v5, v13, 0xbf5db3d7, v1
	v_fmac_f32_e32 v0, 0xbf5db3d7, v6
	v_fmac_f32_e32 v1, 0x3f5db3d7, v13
	buffer_store_dword v7, off, s[20:23], 0 offset:312 ; 4-byte Folded Spill
	ds_write2_b64 v7, v[2:3], v[4:5] offset1:27
	v_lshlrev_b32_e32 v4, 4, v203
	ds_write_b64 v7, v[0:1] offset:432
	v_add_co_u32 v0, s0, 0xffffffee, v203
	v_add_co_ci_u32_e64 v1, null, 0, -1, s0
	s_waitcnt lgkmcnt(0)
	s_waitcnt_vscnt null, 0x0
	v_cndmask_b32_e32 v140, v0, v8, vcc_lo
	s_barrier
	v_cndmask_b32_e32 v141, v1, v84, vcc_lo
	buffer_gl0_inv
	buffer_store_dword v203, off, s[20:23], 0 ; 4-byte Folded Spill
	v_lshlrev_b64 v[0:1], 4, v[140:141]
	v_add_co_u32 v0, vcc_lo, s14, v0
	v_add_co_ci_u32_e32 v1, vcc_lo, s15, v1, vcc_lo
	s_clause 0x1
	global_load_dwordx4 v[0:3], v[0:1], off offset:624
	global_load_dwordx4 v[4:7], v4, s[14:15] offset:624
	ds_read2_b64 v[12:15], v69 offset0:110 offset1:173
	ds_read2_b64 v[17:20], v70 offset0:118 offset1:181
	v_cmp_lt_u16_e32 vcc_lo, 17, v68
	s_waitcnt vmcnt(1) lgkmcnt(1)
	v_mul_f32_e32 v141, v14, v3
	s_waitcnt vmcnt(0)
	v_mul_f32_e32 v8, v13, v7
	s_waitcnt lgkmcnt(0)
	v_mul_f32_e32 v203, v17, v1
	v_mul_f32_e32 v32, v12, v7
	v_fmac_f32_e32 v141, v15, v2
	v_fma_f32 v31, v12, v6, -v8
	v_mul_f32_e32 v8, v15, v3
	v_fmac_f32_e32 v32, v13, v6
	v_fma_f32 v151, v14, v2, -v8
	v_mul_lo_u16 v8, 0xcb, v11
	v_lshrrev_b16 v198, 14, v8
	v_mul_lo_u16 v8, 0x51, v198
	v_sub_nc_u16 v8, v9, v8
	v_mul_lo_u16 v9, 0xcb, v10
	v_and_b32_e32 v200, 0xff, v8
	v_mul_f32_e32 v8, v18, v1
	v_lshrrev_b16 v199, 14, v9
	v_fma_f32 v202, v17, v0, -v8
	buffer_store_dword v0, off, s[20:23], 0 offset:248 ; 4-byte Folded Spill
	buffer_store_dword v1, off, s[20:23], 0 offset:252 ; 4-byte Folded Spill
	;; [unrolled: 1-line block ×4, first 2 shown]
	v_mul_lo_u16 v9, 0x51, v199
	v_lshlrev_b32_e32 v8, 4, v200
	v_sub_nc_u16 v9, v142, v9
	v_and_b32_e32 v201, 0xff, v9
	v_lshlrev_b32_e32 v9, 4, v201
	v_fmac_f32_e32 v203, v18, v0
	s_clause 0x1
	global_load_dwordx4 v[10:13], v8, s[14:15] offset:624
	global_load_dwordx4 v[0:3], v9, s[14:15] offset:624
	s_waitcnt vmcnt(1)
	v_mul_f32_e32 v17, v20, v11
	v_mul_f32_e32 v205, v19, v11
	v_fma_f32 v204, v19, v10, -v17
	v_fmac_f32_e32 v205, v20, v10
	ds_read2_b64 v[17:20], v79 offset0:108 offset1:171
	s_waitcnt lgkmcnt(0)
	v_mul_f32_e32 v21, v18, v13
	v_mul_f32_e32 v207, v17, v13
	s_waitcnt vmcnt(0)
	v_mul_f32_e32 v209, v19, v3
	v_fma_f32 v206, v17, v12, -v21
	buffer_store_dword v10, off, s[20:23], 0 offset:320 ; 4-byte Folded Spill
	buffer_store_dword v11, off, s[20:23], 0 offset:324 ; 4-byte Folded Spill
	;; [unrolled: 1-line block ×4, first 2 shown]
	v_mul_f32_e32 v17, v20, v3
	v_fmac_f32_e32 v209, v20, v2
	v_fma_f32 v208, v19, v2, -v17
	v_mul_u32_u24_sdwa v17, v28, v33 dst_sel:DWORD dst_unused:UNUSED_PAD src0_sel:WORD_0 src1_sel:DWORD
	v_lshrrev_b32_e32 v17, 21, v17
	v_mul_lo_u16 v17, 0x51, v17
	v_sub_nc_u16 v210, v28, v17
	v_mul_u32_u24_sdwa v17, v16, v33 dst_sel:DWORD dst_unused:UNUSED_PAD src0_sel:WORD_0 src1_sel:DWORD
	ds_read2_b64 v[27:30], v82 offset0:116 offset1:179
	v_lshrrev_b32_e32 v211, 21, v17
	v_mul_lo_u16 v17, 0x51, v211
	v_sub_nc_u16 v212, v16, v17
	v_lshlrev_b16 v16, 4, v210
	v_lshlrev_b16 v17, 4, v212
	v_and_b32_e32 v16, 0xffff, v16
	s_waitcnt lgkmcnt(0)
	v_mul_f32_e32 v20, v28, v1
	v_mul_f32_e32 v214, v27, v1
	v_add_co_u32 v16, s0, s14, v16
	v_fma_f32 v213, v27, v0, -v20
	buffer_store_dword v0, off, s[20:23], 0 offset:296 ; 4-byte Folded Spill
	buffer_store_dword v1, off, s[20:23], 0 offset:300 ; 4-byte Folded Spill
	buffer_store_dword v2, off, s[20:23], 0 offset:304 ; 4-byte Folded Spill
	buffer_store_dword v3, off, s[20:23], 0 offset:308 ; 4-byte Folded Spill
	v_fmac_f32_e32 v207, v18, v12
	v_and_b32_e32 v18, 0xffff, v17
	v_add_co_ci_u32_e64 v17, null, s15, 0, s0
	v_add_co_u32 v18, s0, s14, v18
	v_add_co_ci_u32_e64 v19, null, s15, 0, s0
	s_clause 0x1
	global_load_dwordx4 v[20:23], v[16:17], off offset:624
	global_load_dwordx4 v[8:11], v[18:19], off offset:624
	ds_read2_b64 v[192:195], v78 offset0:120 offset1:183
	v_fmac_f32_e32 v214, v28, v0
	s_waitcnt vmcnt(1)
	v_mul_f32_e32 v27, v30, v21
	v_mul_f32_e32 v216, v29, v21
	v_fma_f32 v215, v29, v20, -v27
	v_mul_u32_u24_sdwa v27, v24, v33 dst_sel:DWORD dst_unused:UNUSED_PAD src0_sel:WORD_0 src1_sel:DWORD
	v_fmac_f32_e32 v216, v30, v20
	v_lshrrev_b32_e32 v217, 21, v27
	v_mul_lo_u16 v27, 0x51, v217
	v_sub_nc_u16 v218, v24, v27
	v_mul_u32_u24_sdwa v24, v25, v33 dst_sel:DWORD dst_unused:UNUSED_PAD src0_sel:WORD_0 src1_sel:DWORD
	v_lshrrev_b32_e32 v219, 21, v24
	v_mul_lo_u16 v24, 0x51, v219
	v_sub_nc_u16 v220, v25, v24
	v_mul_u32_u24_sdwa v24, v26, v33 dst_sel:DWORD dst_unused:UNUSED_PAD src0_sel:WORD_0 src1_sel:DWORD
	s_waitcnt lgkmcnt(0)
	v_mul_f32_e32 v25, v194, v5
	v_lshrrev_b32_e32 v24, 21, v24
	v_mul_lo_u16 v24, 0x51, v24
	v_sub_nc_u16 v221, v26, v24
	v_mul_f32_e32 v24, v195, v5
	v_fma_f32 v24, v194, v4, -v24
	buffer_store_dword v4, off, s[20:23], 0 offset:272 ; 4-byte Folded Spill
	buffer_store_dword v5, off, s[20:23], 0 offset:276 ; 4-byte Folded Spill
	;; [unrolled: 1-line block ×4, first 2 shown]
	ds_read2_b64 v[84:87], v254 offset1:63
	v_sub_f32_e32 v223, v24, v31
	v_fmac_f32_e32 v25, v195, v4
	s_waitcnt lgkmcnt(0)
	v_add_f32_e32 v26, v85, v25
	v_sub_f32_e32 v222, v25, v32
	v_add_f32_e32 v25, v25, v32
	v_add_f32_e32 v148, v26, v32
	v_add_f32_e32 v26, v84, v24
	v_fma_f32 v150, -0.5, v25, v85
	v_lshlrev_b16 v25, 4, v220
	v_add_f32_e32 v147, v26, v31
	v_add_f32_e32 v26, v24, v31
	v_lshlrev_b16 v24, 4, v218
	v_fmamk_f32 v189, v223, 0xbf5db3d7, v150
	v_fmac_f32_e32 v150, 0x3f5db3d7, v223
	v_fma_f32 v149, -0.5, v26, v84
	v_and_b32_e32 v26, 0xffff, v25
	v_lshlrev_b16 v25, 4, v221
	v_and_b32_e32 v24, 0xffff, v24
	v_fmamk_f32 v188, v222, 0x3f5db3d7, v149
	v_fmac_f32_e32 v149, 0xbf5db3d7, v222
	v_and_b32_e32 v28, 0xffff, v25
	v_add_co_u32 v24, s0, s14, v24
	v_add_co_ci_u32_e64 v25, null, s15, 0, s0
	v_add_co_u32 v26, s0, s14, v26
	v_add_co_ci_u32_e64 v27, null, s15, 0, s0
	;; [unrolled: 2-line block ×3, first 2 shown]
	s_clause 0x2
	global_load_dwordx4 v[32:35], v[24:25], off offset:624
	global_load_dwordx4 v[28:31], v[26:27], off offset:624
	;; [unrolled: 1-line block ×3, first 2 shown]
	v_cndmask_b32_e64 v85, 0, 0xf3, vcc_lo
	ds_read_b64 v[190:191], v254 offset:13104
	ds_read2_b64 v[88:91], v81 offset0:124 offset1:187
	ds_read2_b64 v[81:84], v83 offset0:104 offset1:167
	;; [unrolled: 1-line block ×7, first 2 shown]
	s_waitcnt vmcnt(0) lgkmcnt(0)
	s_waitcnt_vscnt null, 0x0
	s_barrier
	buffer_gl0_inv
	v_add_lshl_u32 v0, v140, v85, 3
	v_add_f32_e32 v85, v87, v203
	ds_write2_b64 v254, v[147:148], v[188:189] offset1:81
	ds_write_b64 v254, v[149:150] offset:1296
	v_sub_f32_e32 v149, v203, v141
	v_add_f32_e32 v147, v203, v141
	v_add_f32_e32 v141, v85, v141
	;; [unrolled: 1-line block ×3, first 2 shown]
	v_sub_f32_e32 v150, v202, v151
	buffer_store_dword v0, off, s[20:23], 0 offset:340 ; 4-byte Folded Spill
	v_fmac_f32_e32 v87, -0.5, v147
	v_cmp_gt_u16_e32 vcc_lo, 54, v68
	v_add_f32_e32 v140, v85, v151
	v_add_f32_e32 v85, v202, v151
	v_fmamk_f32 v148, v150, 0xbf5db3d7, v87
	v_fmac_f32_e32 v87, 0x3f5db3d7, v150
	v_fma_f32 v86, -0.5, v85, v86
	v_add_f32_e32 v85, v93, v205
	v_fmamk_f32 v147, v149, 0x3f5db3d7, v86
	v_fmac_f32_e32 v86, 0xbf5db3d7, v149
	ds_write2_b64 v0, v[140:141], v[147:148] offset1:81
	v_add_f32_e32 v140, v205, v207
	v_add_f32_e32 v141, v204, v206
	v_mov_b32_e32 v148, 0xf3
	ds_write_b64 v0, v[86:87] offset:1296
	v_sub_f32_e32 v87, v205, v207
	v_add_f32_e32 v86, v85, v207
	v_add_f32_e32 v85, v92, v204
	v_sub_f32_e32 v147, v204, v206
	v_fma_f32 v92, -0.5, v141, v92
	v_fma_f32 v93, -0.5, v140, v93
	v_mul_u32_u24_sdwa v140, v198, v148 dst_sel:DWORD dst_unused:UNUSED_PAD src0_sel:WORD_0 src1_sel:DWORD
	v_add_f32_e32 v85, v85, v206
	v_fmamk_f32 v141, v147, 0xbf5db3d7, v93
	v_add_lshl_u32 v0, v140, v200, 3
	v_fmamk_f32 v140, v87, 0x3f5db3d7, v92
	v_fmac_f32_e32 v92, 0xbf5db3d7, v87
	v_fmac_f32_e32 v93, 0x3f5db3d7, v147
	v_mul_u32_u24_sdwa v87, v199, v148 dst_sel:DWORD dst_unused:UNUSED_PAD src0_sel:WORD_0 src1_sel:DWORD
	buffer_store_dword v0, off, s[20:23], 0 offset:344 ; 4-byte Folded Spill
	ds_write2_b64 v0, v[85:86], v[140:141] offset1:81
	v_add_f32_e32 v85, v95, v214
	ds_write_b64 v0, v[92:93] offset:1296
	v_add_f32_e32 v92, v214, v209
	v_add_f32_e32 v93, v213, v208
	v_sub_f32_e32 v140, v214, v209
	v_add_f32_e32 v86, v85, v209
	v_add_f32_e32 v85, v94, v213
	v_sub_f32_e32 v141, v213, v208
	v_fma_f32 v94, -0.5, v93, v94
	v_fmac_f32_e32 v95, -0.5, v92
	v_add_lshl_u32 v0, v87, v201, 3
	v_add_f32_e32 v85, v85, v208
	v_fmamk_f32 v92, v140, 0x3f5db3d7, v94
	v_fmamk_f32 v93, v141, 0xbf5db3d7, v95
	v_fmac_f32_e32 v94, 0xbf5db3d7, v140
	v_fmac_f32_e32 v95, 0x3f5db3d7, v141
	buffer_store_dword v0, off, s[20:23], 0 offset:348 ; 4-byte Folded Spill
	ds_write2_b64 v0, v[85:86], v[92:93] offset1:81
	v_mul_f32_e32 v85, v96, v23
	v_mul_f32_e32 v86, v97, v23
	ds_write_b64 v0, v[94:95] offset:1296
	v_lshlrev_b32_sdwa v0, v80, v210 dst_sel:DWORD dst_unused:UNUSED_PAD src0_sel:DWORD src1_sel:WORD_0
	v_fmac_f32_e32 v85, v97, v22
	v_fma_f32 v87, v96, v22, -v86
	v_add_f32_e32 v86, v89, v216
	v_sub_f32_e32 v94, v216, v85
	v_add_f32_e32 v92, v216, v85
	v_add_f32_e32 v86, v86, v85
	;; [unrolled: 1-line block ×4, first 2 shown]
	v_sub_f32_e32 v95, v215, v87
	v_add_f32_e32 v85, v85, v87
	v_fma_f32 v87, -0.5, v93, v88
	v_fma_f32 v88, -0.5, v92, v89
	v_add_nc_u32_e32 v89, 0x1400, v0
	v_fmamk_f32 v92, v94, 0x3f5db3d7, v87
	v_fmamk_f32 v93, v95, 0xbf5db3d7, v88
	v_fmac_f32_e32 v87, 0xbf5db3d7, v94
	v_fmac_f32_e32 v88, 0x3f5db3d7, v95
	ds_write2_b64 v89, v[85:86], v[92:93] offset0:89 offset1:170
	v_mul_f32_e32 v85, v99, v11
	v_mul_f32_e32 v86, v98, v11
	;; [unrolled: 1-line block ×4, first 2 shown]
	v_fma_f32 v85, v98, v10, -v85
	v_fmac_f32_e32 v86, v99, v10
	v_fma_f32 v89, v100, v8, -v89
	buffer_store_dword v8, off, s[20:23], 0 offset:444 ; 4-byte Folded Spill
	buffer_store_dword v9, off, s[20:23], 0 offset:448 ; 4-byte Folded Spill
	;; [unrolled: 1-line block ×4, first 2 shown]
	ds_write_b64 v0, v[87:88] offset:7128
	buffer_store_dword v0, off, s[20:23], 0 offset:352 ; 4-byte Folded Spill
	v_mul_f32_e32 v97, v82, v35
	v_mul_f32_e32 v98, v81, v35
	;; [unrolled: 1-line block ×5, first 2 shown]
	v_fma_f32 v97, v81, v34, -v97
	v_mul_f32_e32 v81, v84, v31
	v_fmac_f32_e32 v96, v103, v32
	v_fmac_f32_e32 v98, v82, v34
	;; [unrolled: 1-line block ×3, first 2 shown]
	v_fma_f32 v93, v102, v32, -v93
	v_fma_f32 v99, v83, v30, -v81
	v_mul_f32_e32 v81, v144, v29
	v_mad_u16 v83, 0xf3, v211, v212
	v_mul_f32_e32 v102, v143, v29
	v_sub_f32_e32 v88, v93, v97
	v_mul_f32_e32 v140, v145, v25
	v_lshlrev_b32_sdwa v0, v80, v83 dst_sel:DWORD dst_unused:UNUSED_PAD src0_sel:DWORD src1_sel:WORD_0
	v_fmac_f32_e32 v102, v144, v28
	v_fmac_f32_e32 v140, v146, v24
	buffer_store_dword v0, off, s[20:23], 0 offset:356 ; 4-byte Folded Spill
	v_sub_f32_e32 v68, v102, v100
	v_fmac_f32_e32 v92, v101, v8
	v_fma_f32 v101, v143, v28, -v81
	v_mul_f32_e32 v81, v146, v25
	v_sub_f32_e32 v87, v92, v86
	v_add_f32_e32 v84, v92, v86
	v_fma_f32 v103, v145, v24, -v81
	v_add_f32_e32 v81, v91, v92
	v_fmac_f32_e32 v91, -0.5, v84
	v_add_f32_e32 v82, v81, v86
	v_add_f32_e32 v81, v90, v89
	;; [unrolled: 1-line block ×4, first 2 shown]
	v_sub_f32_e32 v85, v89, v85
	v_fma_f32 v90, -0.5, v86, v90
	v_fmamk_f32 v84, v85, 0xbf5db3d7, v91
	v_fmamk_f32 v83, v87, 0x3f5db3d7, v90
	v_fmac_f32_e32 v90, 0xbf5db3d7, v87
	v_fmac_f32_e32 v91, 0x3f5db3d7, v85
	v_mad_u16 v85, 0xf3, v217, v218
	v_sub_f32_e32 v87, v96, v98
	ds_write2_b64 v0, v[81:82], v[83:84] offset1:81
	v_add_f32_e32 v84, v96, v98
	v_add_f32_e32 v83, v93, v97
	;; [unrolled: 1-line block ×3, first 2 shown]
	ds_write_b64 v0, v[90:91] offset:1296
	v_lshlrev_b32_sdwa v0, v80, v85 dst_sel:DWORD dst_unused:UNUSED_PAD src0_sel:DWORD src1_sel:WORD_0
	v_fma_f32 v84, -0.5, v84, v195
	v_fma_f32 v83, -0.5, v83, v194
	v_add_f32_e32 v82, v81, v98
	v_add_f32_e32 v81, v194, v93
	buffer_store_dword v0, off, s[20:23], 0 offset:360 ; 4-byte Folded Spill
	v_fmamk_f32 v86, v88, 0xbf5db3d7, v84
	v_fmamk_f32 v85, v87, 0x3f5db3d7, v83
	v_fmac_f32_e32 v83, 0xbf5db3d7, v87
	v_fmac_f32_e32 v84, 0x3f5db3d7, v88
	v_add_f32_e32 v81, v81, v97
	v_add_f32_e32 v87, v192, v103
	ds_write_b64 v0, v[83:84] offset:1296
	v_mad_u16 v83, 0xf3, v219, v220
	ds_write2_b64 v0, v[81:82], v[85:86] offset1:81
	v_mul_f32_e32 v81, v191, v27
	v_mul_f32_e32 v82, v190, v27
	v_lshlrev_b32_sdwa v0, v80, v221 dst_sel:DWORD dst_unused:UNUSED_PAD src0_sel:DWORD src1_sel:WORD_0
	v_lshlrev_b32_sdwa v1, v80, v83 dst_sel:DWORD dst_unused:UNUSED_PAD src0_sel:DWORD src1_sel:WORD_0
	v_add_f32_e32 v80, v197, v102
	v_fma_f32 v81, v190, v26, -v81
	v_fmac_f32_e32 v82, v191, v26
	v_add_f32_e32 v85, v193, v140
	v_add_f32_e32 v83, v102, v100
	;; [unrolled: 1-line block ×8, first 2 shown]
	v_fma_f32 v196, -0.5, v80, v196
	v_sub_f32_e32 v80, v140, v82
	v_add_f32_e32 v82, v103, v81
	v_add_f32_e32 v198, v84, v99
	v_sub_f32_e32 v84, v101, v99
	v_sub_f32_e32 v81, v103, v81
	v_fmac_f32_e32 v197, -0.5, v83
	v_fma_f32 v192, -0.5, v82, v192
	v_fmac_f32_e32 v193, -0.5, v86
	v_fmamk_f32 v200, v68, 0x3f5db3d7, v196
	v_fmac_f32_e32 v196, 0xbf5db3d7, v68
	v_fmamk_f32 v201, v84, 0xbf5db3d7, v197
	v_fmac_f32_e32 v197, 0x3f5db3d7, v84
	;; [unrolled: 2-line block ×4, first 2 shown]
	v_add_nc_u32_e32 v68, 0x2c00, v0
	ds_write2_b64 v1, v[198:199], v[200:201] offset1:81
	buffer_store_dword v1, off, s[20:23], 0 offset:368 ; 4-byte Folded Spill
	ds_write_b64 v1, v[196:197] offset:1296
	buffer_store_dword v0, off, s[20:23], 0 offset:364 ; 4-byte Folded Spill
	ds_write2_b64 v68, v[212:213], v[194:195] offset0:50 offset1:131
	ds_write_b64 v0, v[192:193] offset:12960
	s_waitcnt lgkmcnt(0)
	s_waitcnt_vscnt null, 0x0
	s_barrier
	buffer_gl0_inv
	ds_read_b64 v[252:253], v254 offset:12672
	ds_read2_b64 v[242:245], v78 offset0:102 offset1:165
	ds_read2_b64 v[226:229], v70 offset0:100 offset1:217
	ds_read2_b64 v[238:241], v77 offset0:76 offset1:139
	ds_read2_b64 v[218:221], v69 offset0:74 offset1:191
	ds_read2_b64 v[234:237], v71 offset0:178 offset1:241
	ds_read2_b64 v[222:225], v76 offset0:24 offset1:87
	ds_read2_b64 v[206:209], v254 offset1:63
	ds_read2_b64 v[202:205], v254 offset0:126 offset1:243
	ds_read2_b64 v[230:233], v230 offset0:50 offset1:113
	;; [unrolled: 1-line block ×3, first 2 shown]
	s_and_saveexec_b32 s0, vcc_lo
	s_cbranch_execz .LBB0_3
; %bb.2:
	v_add_nc_u32_e32 v68, 0x1500, v254
	ds_read2_b64 v[194:197], v79 offset0:9 offset1:252
	ds_read2_b64 v[210:213], v68 offset0:3 offset1:246
	v_add_nc_u32_e32 v68, 0x5c0, v254
	ds_read_b64 v[246:247], v254 offset:13176
	ds_read2_b64 v[198:201], v68 offset0:5 offset1:248
	s_waitcnt lgkmcnt(3)
	v_mov_b32_e32 v192, v196
	v_mov_b32_e32 v193, v197
	s_waitcnt lgkmcnt(2)
	v_mov_b32_e32 v196, v210
	v_mov_b32_e32 v197, v211
.LBB0_3:
	s_or_b32 exec_lo, exec_lo, s0
	buffer_load_dword v0, off, s[20:23], 0  ; 4-byte Folded Reload
	s_waitcnt vmcnt(0)
	v_mad_u64_u32 v[84:85], null, v0, 48, s[14:15]
	v_subrev_nc_u32_e32 v143, 54, v0
	v_cndmask_b32_e32 v142, v143, v142, vcc_lo
	v_add_co_u32 v76, s0, 0x1000, v84
	v_add_co_ci_u32_e64 v77, s0, 0, v85, s0
	s_clause 0x2
	global_load_dwordx4 v[68:71], v[84:85], off offset:1920
	global_load_dwordx4 v[100:103], v[84:85], off offset:1936
	;; [unrolled: 1-line block ×3, first 2 shown]
	v_add_co_u32 v76, s0, 0x1350, v84
	v_add_co_ci_u32_e64 v77, s0, 0, v85, s0
	s_clause 0x2
	global_load_dwordx4 v[88:91], v[76:77], off offset:16
	global_load_dwordx4 v[96:99], v[84:85], off offset:1952
	;; [unrolled: 1-line block ×3, first 2 shown]
	v_add_co_u32 v76, s0, 0x1800, v84
	v_add_co_ci_u32_e64 v77, s0, 0, v85, s0
	v_add_co_u32 v140, s0, 0x1f20, v84
	v_add_co_ci_u32_e64 v141, s0, 0, v85, s0
	s_clause 0x2
	global_load_dwordx4 v[76:79], v[76:77], off offset:1824
	global_load_dwordx4 v[84:87], v[140:141], off offset:16
	;; [unrolled: 1-line block ×3, first 2 shown]
	v_mul_i32_i24_e32 v140, 48, v142
	v_mul_hi_i32_i24_e32 v141, 48, v142
	v_add_co_u32 v148, s0, s14, v140
	v_add_co_ci_u32_e64 v149, s0, s15, v141, s0
	s_clause 0x2
	global_load_dwordx4 v[12:15], v[148:149], off offset:1920
	global_load_dwordx4 v[0:3], v[148:149], off offset:1936
	;; [unrolled: 1-line block ×3, first 2 shown]
	s_waitcnt vmcnt(11) lgkmcnt(9)
	v_mul_f32_e32 v140, v243, v71
	v_mul_f32_e32 v141, v242, v71
	s_waitcnt vmcnt(10) lgkmcnt(7)
	v_mul_f32_e32 v142, v239, v103
	v_mul_f32_e32 v143, v238, v103
	s_waitcnt vmcnt(9)
	v_mul_f32_e32 v146, v245, v95
	v_fma_f32 v140, v242, v70, -v140
	v_fmac_f32_e32 v141, v243, v70
	v_fma_f32 v142, v238, v102, -v142
	s_waitcnt vmcnt(8)
	v_mul_f32_e32 v242, v241, v91
	v_mul_f32_e32 v243, v240, v91
	v_fmac_f32_e32 v143, v239, v102
	s_waitcnt vmcnt(7) lgkmcnt(5)
	v_mul_f32_e32 v238, v235, v99
	v_mul_f32_e32 v144, v229, v101
	v_fma_f32 v239, v240, v90, -v242
	v_fmac_f32_e32 v243, v241, v90
	v_mul_f32_e32 v240, v234, v99
	s_waitcnt vmcnt(6)
	v_mul_f32_e32 v241, v237, v83
	v_mul_f32_e32 v242, v236, v83
	v_mul_f32_e32 v145, v228, v101
	v_mul_f32_e32 v147, v244, v95
	v_fma_f32 v146, v244, v94, -v146
	s_waitcnt lgkmcnt(1)
	v_mul_f32_e32 v244, v231, v93
	v_fma_f32 v234, v234, v98, -v238
	v_fmac_f32_e32 v240, v235, v98
	v_fma_f32 v235, v236, v82, -v241
	v_fmac_f32_e32 v242, v237, v82
	v_mul_f32_e32 v236, v230, v93
	s_waitcnt vmcnt(5)
	v_mul_f32_e32 v237, v233, v77
	v_mul_f32_e32 v238, v232, v77
	;; [unrolled: 1-line block ×3, first 2 shown]
	v_fma_f32 v144, v228, v100, -v144
	v_fmac_f32_e32 v145, v229, v100
	v_mul_f32_e32 v228, v227, v79
	v_fma_f32 v229, v230, v92, -v244
	v_fmac_f32_e32 v236, v231, v92
	v_fma_f32 v230, v232, v76, -v237
	v_fmac_f32_e32 v238, v233, v76
	v_mul_f32_e32 v231, v226, v79
	v_mul_f32_e32 v232, v223, v89
	;; [unrolled: 1-line block ×3, first 2 shown]
	s_waitcnt vmcnt(4)
	v_mul_f32_e32 v237, v225, v85
	v_mul_f32_e32 v211, v204, v69
	v_fma_f32 v226, v226, v78, -v228
	v_fmac_f32_e32 v231, v227, v78
	v_mul_f32_e32 v227, v224, v85
	v_mul_f32_e32 v228, v221, v97
	;; [unrolled: 1-line block ×4, first 2 shown]
	v_fma_f32 v222, v222, v88, -v232
	v_fmac_f32_e32 v233, v223, v88
	v_fma_f32 v223, v224, v84, -v237
	s_waitcnt lgkmcnt(0)
	v_mul_f32_e32 v232, v214, v81
	s_waitcnt vmcnt(3)
	v_mul_f32_e32 v237, v217, v189
	v_fma_f32 v210, v204, v68, -v210
	s_waitcnt vmcnt(2)
	v_mul_f32_e32 v204, v197, v15
	v_fmac_f32_e32 v227, v225, v84
	v_mul_f32_e32 v224, v218, v87
	v_mul_f32_e32 v225, v215, v81
	v_fma_f32 v220, v220, v96, -v228
	v_fmac_f32_e32 v241, v221, v96
	v_fma_f32 v218, v218, v86, -v244
	v_fmac_f32_e32 v211, v205, v68
	v_fmac_f32_e32 v232, v215, v80
	v_fma_f32 v215, v216, v188, -v237
	v_mul_f32_e32 v228, v196, v15
	s_waitcnt vmcnt(1)
	v_mul_f32_e32 v205, v213, v1
	v_mul_f32_e32 v237, v212, v1
	v_mul_f32_e32 v221, v195, v3
	v_fma_f32 v244, v196, v14, -v204
	s_waitcnt vmcnt(0)
	v_mul_f32_e32 v196, v193, v17
	v_mul_f32_e32 v248, v192, v17
	;; [unrolled: 1-line block ×4, first 2 shown]
	v_fmac_f32_e32 v147, v245, v94
	v_fmac_f32_e32 v228, v197, v14
	v_mul_f32_e32 v245, v194, v3
	v_fma_f32 v249, v212, v0, -v205
	v_fmac_f32_e32 v237, v213, v0
	v_fma_f32 v255, v194, v2, -v221
	buffer_store_dword v0, off, s[20:23], 0 offset:508 ; 4-byte Folded Spill
	buffer_store_dword v1, off, s[20:23], 0 offset:512 ; 4-byte Folded Spill
	;; [unrolled: 1-line block ×4, first 2 shown]
	v_fma_f32 v150, v192, v16, -v196
	v_fmac_f32_e32 v248, v193, v16
	v_fma_f32 v9, v246, v18, -v9
	v_mul_f32_e32 v10, v246, v19
	buffer_store_dword v16, off, s[20:23], 0 offset:524 ; 4-byte Folded Spill
	buffer_store_dword v17, off, s[20:23], 0 offset:528 ; 4-byte Folded Spill
	;; [unrolled: 1-line block ×4, first 2 shown]
	v_fma_f32 v11, v200, v12, -v11
	v_mul_f32_e32 v246, v200, v13
	buffer_store_dword v12, off, s[20:23], 0 offset:492 ; 4-byte Folded Spill
	buffer_store_dword v13, off, s[20:23], 0 offset:496 ; 4-byte Folded Spill
	;; [unrolled: 1-line block ×4, first 2 shown]
	v_fmac_f32_e32 v224, v219, v86
	v_mul_f32_e32 v219, v216, v189
	v_fma_f32 v214, v214, v80, -v225
	v_add_f32_e32 v225, v210, v234
	v_add_f32_e32 v212, v140, v220
	;; [unrolled: 1-line block ×4, first 2 shown]
	v_fmac_f32_e32 v219, v217, v188
	v_add_f32_e32 v216, v144, v142
	v_add_f32_e32 v217, v145, v143
	;; [unrolled: 1-line block ×8, first 2 shown]
	v_mul_f32_e32 v5, v253, v191
	v_add_f32_e32 v148, v222, v239
	v_add_f32_e32 v193, v221, v251
	;; [unrolled: 1-line block ×5, first 2 shown]
	v_fma_f32 v5, v252, v190, -v5
	v_mul_f32_e32 v6, v252, v191
	v_add_f32_e32 v196, v11, v9
	v_add_f32_e32 v197, v244, v150
	;; [unrolled: 1-line block ×4, first 2 shown]
	v_fmac_f32_e32 v6, v253, v190
	v_add_f32_e32 v253, v227, v224
	v_sub_f32_e32 v15, v142, v144
	v_add_f32_e32 v205, v209, v4
	v_add_f32_e32 v209, v231, v219
	v_sub_f32_e32 v142, v143, v145
	v_sub_f32_e32 v141, v141, v241
	v_sub_f32_e32 v144, v211, v240
	v_sub_f32_e32 v145, v229, v235
	v_sub_f32_e32 v146, v146, v214
	v_sub_f32_e32 v214, v231, v219
	v_sub_f32_e32 v219, v212, v225
	v_sub_f32_e32 v212, v216, v212
	v_sub_f32_e32 v143, v210, v234
	v_sub_f32_e32 v140, v140, v220
	v_sub_f32_e32 v147, v147, v232
	v_sub_f32_e32 v210, v243, v233
	v_sub_f32_e32 v5, v230, v5
	v_sub_f32_e32 v211, v226, v215
	v_sub_f32_e32 v230, v253, v209
	v_sub_f32_e32 v220, v250, v213
	v_sub_f32_e32 v213, v213, v217
	v_fmamk_f32 v4, v4, 0xbf955555, v205
	v_sub_f32_e32 v233, v211, v5
	v_fmac_f32_e32 v245, v195, v2
	v_add_f32_e32 v2, v216, v151
	v_add_f32_e32 v151, v148, v193
	;; [unrolled: 1-line block ×4, first 2 shown]
	v_fmac_f32_e32 v10, v247, v18
	v_add_f32_e32 v192, v206, v2
	v_add_f32_e32 v206, v226, v215
	v_fmac_f32_e32 v246, v201, v12
	v_add_f32_e32 v201, v228, v248
	v_add_f32_e32 v204, v208, v151
	;; [unrolled: 1-line block ×7, first 2 shown]
	v_sub_f32_e32 v216, v225, v216
	v_add_f32_e32 v252, v207, v194
	v_add_f32_e32 v14, v201, v200
	v_add_f32_e32 v194, v209, v208
	v_sub_f32_e32 v225, v0, v149
	v_sub_f32_e32 v0, v1, v0
	;; [unrolled: 1-line block ×3, first 2 shown]
	v_add_f32_e32 v14, v13, v14
	v_add_f32_e32 v8, v253, v194
	;; [unrolled: 1-line block ×3, first 2 shown]
	v_sub_f32_e32 v149, v7, v207
	v_sub_f32_e32 v229, v207, v206
	v_add_f32_e32 v195, v199, v14
	v_sub_f32_e32 v199, v239, v222
	v_add_f32_e32 v207, v142, v141
	v_add_f32_e32 v12, v247, v194
	v_sub_f32_e32 v7, v206, v7
	v_sub_f32_e32 v206, v208, v253
	v_sub_f32_e32 v231, v209, v208
	v_sub_f32_e32 v208, v142, v141
	v_sub_f32_e32 v141, v141, v144
	v_sub_f32_e32 v142, v144, v142
	v_add_f32_e32 v144, v207, v144
	v_add_f32_e32 v207, v199, v146
	;; [unrolled: 1-line block ×3, first 2 shown]
	v_sub_f32_e32 v198, v236, v242
	v_sub_f32_e32 v215, v218, v223
	v_add_f32_e32 v223, v15, v140
	v_sub_f32_e32 v209, v199, v146
	v_sub_f32_e32 v146, v146, v145
	;; [unrolled: 1-line block ×3, first 2 shown]
	v_add_f32_e32 v145, v207, v145
	v_add_f32_e32 v207, v210, v147
	v_sub_f32_e32 v218, v224, v227
	v_sub_f32_e32 v224, v15, v140
	;; [unrolled: 1-line block ×4, first 2 shown]
	v_add_f32_e32 v143, v223, v143
	v_sub_f32_e32 v223, v210, v147
	v_sub_f32_e32 v147, v147, v198
	;; [unrolled: 1-line block ×3, first 2 shown]
	v_add_f32_e32 v198, v207, v198
	v_add_f32_e32 v207, v215, v211
	v_sub_f32_e32 v6, v238, v6
	v_sub_f32_e32 v232, v5, v215
	;; [unrolled: 1-line block ×4, first 2 shown]
	v_add_f32_e32 v5, v207, v5
	v_add_f32_e32 v207, v218, v214
	v_sub_f32_e32 v234, v6, v218
	v_sub_f32_e32 v235, v214, v6
	v_mul_f32_e32 v214, 0x3f5ff5aa, v140
	v_sub_f32_e32 v222, v217, v250
	v_add_f32_e32 v6, v207, v6
	v_mul_f32_e32 v207, 0xbf08b237, v224
	v_mul_f32_e32 v209, 0xbf08b237, v209
	v_fma_f32 v214, 0xbeae86e6, v15, -v214
	v_sub_f32_e32 v217, v221, v251
	v_sub_f32_e32 v221, v148, v221
	v_fma_f32 v140, 0x3f5ff5aa, v140, -v207
	v_fmamk_f32 v15, v15, 0x3eae86e6, v207
	v_mul_f32_e32 v207, 0xbf08b237, v208
	v_mul_f32_e32 v208, 0x3f5ff5aa, v141
	v_sub_f32_e32 v148, v251, v148
	v_fmamk_f32 v227, v199, 0x3eae86e6, v209
	v_mul_f32_e32 v1, 0x3f4a47b2, v1
	v_fma_f32 v141, 0x3f5ff5aa, v141, -v207
	v_fma_f32 v215, 0xbeae86e6, v142, -v208
	v_fmamk_f32 v142, v142, 0x3eae86e6, v207
	v_mul_f32_e32 v207, 0x3f4a47b2, v216
	v_mul_f32_e32 v208, 0x3d64c772, v212
	v_mul_f32_e32 v148, 0x3f4a47b2, v148
	v_fmamk_f32 v2, v2, 0xbf955555, v192
	v_fmamk_f32 v3, v3, 0xbf955555, v193
	v_fma_f32 v216, 0xbf3bfb3b, v219, -v207
	v_fma_f32 v208, 0x3f3bfb3b, v219, -v208
	v_mul_f32_e32 v219, 0x3f5ff5aa, v146
	v_fmamk_f32 v207, v212, 0x3d64c772, v207
	v_mul_f32_e32 v212, 0x3f4a47b2, v213
	v_mul_f32_e32 v213, 0x3d64c772, v222
	v_fma_f32 v146, 0x3f5ff5aa, v146, -v209
	v_fma_f32 v224, 0xbeae86e6, v199, -v219
	v_mul_f32_e32 v199, 0xbf08b237, v223
	v_mul_f32_e32 v209, 0x3f5ff5aa, v147
	v_fma_f32 v213, 0x3f3bfb3b, v220, -v213
	v_fma_f32 v218, 0xbf3bfb3b, v220, -v212
	v_fmamk_f32 v212, v222, 0x3d64c772, v212
	v_fma_f32 v147, 0x3f5ff5aa, v147, -v199
	v_fma_f32 v222, 0xbeae86e6, v210, -v209
	v_fmamk_f32 v236, v210, 0x3eae86e6, v199
	v_mul_f32_e32 v199, 0x3d64c772, v221
	v_mul_f32_e32 v210, 0x3d64c772, v0
	v_add_f32_e32 v202, v202, v252
	v_add_f32_e32 v203, v203, v8
	v_fma_f32 v209, 0xbf3bfb3b, v217, -v148
	v_fma_f32 v199, 0x3f3bfb3b, v217, -v199
	;; [unrolled: 1-line block ×4, first 2 shown]
	v_fmamk_f32 v0, v0, 0x3d64c772, v1
	v_fmac_f32_e32 v140, 0x3ee1c552, v143
	v_fmac_f32_e32 v214, 0x3ee1c552, v143
	;; [unrolled: 1-line block ×9, first 2 shown]
	v_mul_f32_e32 v1, 0xbf08b237, v226
	v_mul_f32_e32 v143, 0x3f4a47b2, v149
	;; [unrolled: 1-line block ×4, first 2 shown]
	v_add_f32_e32 v206, v208, v2
	v_add_f32_e32 v211, v216, v2
	;; [unrolled: 1-line block ×3, first 2 shown]
	v_fmamk_f32 v151, v151, 0xbf955555, v204
	v_add_f32_e32 v207, v213, v3
	v_add_f32_e32 v213, v218, v3
	;; [unrolled: 1-line block ×3, first 2 shown]
	v_fmamk_f32 v148, v221, 0x3d64c772, v148
	v_fmac_f32_e32 v147, 0x3ee1c552, v198
	v_fmac_f32_e32 v222, 0x3ee1c552, v198
	;; [unrolled: 1-line block ×3, first 2 shown]
	v_add_f32_e32 v219, v210, v4
	v_add_f32_e32 v223, v209, v151
	;; [unrolled: 1-line block ×4, first 2 shown]
	v_sub_f32_e32 v198, v206, v141
	v_add_f32_e32 v206, v141, v206
	v_add_f32_e32 v208, v215, v211
	v_sub_f32_e32 v209, v213, v214
	v_sub_f32_e32 v210, v211, v215
	v_add_f32_e32 v211, v214, v213
	v_add_f32_e32 v212, v142, v2
	v_sub_f32_e32 v213, v3, v15
	v_sub_f32_e32 v214, v2, v142
	v_add_f32_e32 v215, v15, v3
	v_fmamk_f32 v2, v232, 0x3eae86e6, v1
	v_fmamk_f32 v3, v234, 0x3eae86e6, v145
	v_fmamk_f32 v4, v229, 0x3d64c772, v143
	v_fmamk_f32 v15, v230, 0x3d64c772, v144
	v_fmamk_f32 v141, v252, 0xbf955555, v202
	v_fmamk_f32 v8, v8, 0xbf955555, v203
	v_add_f32_e32 v148, v148, v151
	v_fmac_f32_e32 v2, 0x3ee1c552, v5
	v_fmac_f32_e32 v3, 0x3ee1c552, v6
	v_add_f32_e32 v4, v4, v141
	v_add_f32_e32 v15, v15, v8
	v_mul_f32_e32 v149, 0x3d64c772, v229
	v_mul_f32_e32 v238, 0x3d64c772, v230
	;; [unrolled: 1-line block ×3, first 2 shown]
	v_add_f32_e32 v218, v199, v151
	v_add_f32_e32 v217, v146, v219
	v_sub_f32_e32 v219, v219, v146
	v_add_f32_e32 v220, v222, v223
	v_sub_f32_e32 v221, v225, v224
	v_sub_f32_e32 v222, v223, v222
	v_add_f32_e32 v223, v224, v225
	v_add_f32_e32 v224, v236, v148
	v_sub_f32_e32 v225, v0, v227
	v_add_f32_e32 v227, v227, v0
	v_mul_f32_e32 v0, 0x3f5ff5aa, v235
	ds_write_b64 v254, v[212:213] offset:1944
	v_add_f32_e32 v212, v3, v4
	v_sub_f32_e32 v213, v15, v2
	v_add_nc_u32_e32 v146, 0x800, v254
	v_add_f32_e32 v199, v140, v207
	v_sub_f32_e32 v207, v207, v140
	v_sub_f32_e32 v216, v218, v147
	v_add_f32_e32 v218, v147, v218
	v_sub_f32_e32 v226, v148, v236
	v_fma_f32 v1, 0x3f5ff5aa, v233, -v1
	v_fma_f32 v140, 0x3f5ff5aa, v235, -v145
	;; [unrolled: 1-line block ×4, first 2 shown]
	ds_write_b64 v254, v[208:209] offset:3888
	ds_write_b64 v254, v[198:199] offset:5832
	ds_write_b64 v254, v[206:207] offset:7776
	ds_write_b64 v254, v[210:211] offset:9720
	ds_write_b64 v254, v[214:215] offset:11664
	ds_write2_b64 v254, v[192:193], v[204:205] offset1:63
	ds_write_b64 v254, v[202:203] offset:1008
	ds_write_b64 v254, v[220:221] offset:4392
	;; [unrolled: 1-line block ×6, first 2 shown]
	ds_write2_b64 v146, v[224:225], v[212:213] offset0:50 offset1:113
	v_fma_f32 v146, 0xbeae86e6, v232, -v239
	v_fma_f32 v0, 0xbeae86e6, v234, -v0
	;; [unrolled: 1-line block ×3, first 2 shown]
	v_fmac_f32_e32 v1, 0x3ee1c552, v5
	v_add_f32_e32 v145, v145, v8
	v_fmac_f32_e32 v146, 0x3ee1c552, v5
	v_fmac_f32_e32 v0, 0x3ee1c552, v6
	v_add_f32_e32 v5, v7, v141
	v_fma_f32 v143, 0xbf3bfb3b, v231, -v144
	v_add_f32_e32 v221, v1, v145
	v_sub_f32_e32 v223, v145, v1
	v_sub_f32_e32 v208, v11, v9
	v_add_f32_e32 v192, v0, v5
	v_sub_f32_e32 v224, v5, v0
	v_sub_f32_e32 v198, v246, v10
	;; [unrolled: 1-line block ×6, first 2 shown]
	v_fmac_f32_e32 v140, 0x3ee1c552, v6
	v_add_f32_e32 v6, v143, v8
	v_sub_f32_e32 v5, v196, v247
	v_sub_f32_e32 v7, v200, v13
	v_add_f32_e32 v8, v0, v209
	v_sub_f32_e32 v211, v0, v209
	v_add_f32_e32 v9, v1, v202
	v_sub_f32_e32 v0, v208, v0
	v_sub_f32_e32 v210, v1, v202
	;; [unrolled: 1-line block ×5, first 2 shown]
	v_mul_f32_e32 v213, 0x3f4a47b2, v5
	v_mul_f32_e32 v214, 0x3f4a47b2, v7
	;; [unrolled: 1-line block ×4, first 2 shown]
	v_add_f32_e32 v219, v8, v208
	v_add_f32_e32 v215, v9, v198
	v_fmamk_f32 v204, v12, 0xbf955555, v194
	v_fmamk_f32 v207, v14, 0xbf955555, v195
	;; [unrolled: 1-line block ×6, first 2 shown]
	v_add_f32_e32 v142, v142, v141
	v_add_f32_e32 v205, v0, v204
	;; [unrolled: 1-line block ×3, first 2 shown]
	v_fmac_f32_e32 v199, 0x3ee1c552, v215
	v_fmac_f32_e32 v203, 0x3ee1c552, v219
	v_sub_f32_e32 v220, v142, v140
	v_sub_f32_e32 v193, v6, v146
	v_add_f32_e32 v222, v140, v142
	v_sub_f32_e32 v0, v205, v199
	v_add_f32_e32 v1, v203, v206
	v_add_f32_e32 v225, v146, v6
	v_sub_f32_e32 v226, v4, v3
	v_add_f32_e32 v227, v2, v15
	ds_write_b64 v254, v[192:193] offset:4896
	buffer_store_dword v0, off, s[20:23], 0 offset:4 ; 4-byte Folded Spill
	buffer_store_dword v1, off, s[20:23], 0 offset:8 ; 4-byte Folded Spill
	ds_write_b64 v254, v[220:221] offset:6840
	ds_write_b64 v254, v[222:223] offset:8784
	;; [unrolled: 1-line block ×4, first 2 shown]
	s_and_saveexec_b32 s0, vcc_lo
	s_cbranch_execz .LBB0_5
; %bb.4:
	v_mul_f32_e32 v0, 0x3d64c772, v217
	v_mul_f32_e32 v1, 0x3d64c772, v218
	v_sub_f32_e32 v3, v209, v208
	v_sub_f32_e32 v4, v201, v200
	v_sub_f32_e32 v5, v197, v196
	v_mul_f32_e32 v7, 0xbf08b237, v211
	v_sub_f32_e32 v11, v202, v198
	v_mul_f32_e32 v12, 0xbf08b237, v210
	v_mul_f32_e32 v2, 0x3ee1c552, v219
	;; [unrolled: 1-line block ×3, first 2 shown]
	v_fma_f32 v8, 0xbf5ff5aa, v3, -v216
	v_fma_f32 v9, 0xbf3bfb3b, v4, -v214
	;; [unrolled: 1-line block ×8, first 2 shown]
	v_add_f32_e32 v8, v2, v8
	v_add_f32_e32 v2, v2, v3
	;; [unrolled: 1-line block ×9, first 2 shown]
	v_sub_f32_e32 v207, v0, v3
	v_sub_f32_e32 v203, v206, v203
	v_add_f32_e32 v202, v199, v205
	v_add_nc_u32_e32 v0, 0x5c0, v254
	v_sub_f32_e32 v201, v1, v2
	v_add_f32_e32 v208, v2, v1
	v_sub_f32_e32 v210, v9, v8
	v_add_f32_e32 v209, v5, v10
	v_add_nc_u32_e32 v1, 0x1500, v254
	v_add_f32_e32 v197, v8, v9
	v_sub_f32_e32 v196, v10, v5
	v_add_nc_u32_e32 v2, 0x2400, v254
	ds_write2_b64 v0, v[194:195], v[202:203] offset0:5 offset1:248
	ds_write2_b64 v1, v[209:210], v[207:208] offset0:3 offset1:246
	;; [unrolled: 1-line block ×3, first 2 shown]
	s_clause 0x1
	buffer_load_dword v0, off, s[20:23], 0 offset:4
	buffer_load_dword v1, off, s[20:23], 0 offset:8
	s_waitcnt vmcnt(0)
	ds_write_b64 v254, v[0:1] offset:13176
.LBB0_5:
	s_or_b32 exec_lo, exec_lo, s0
	buffer_load_dword v0, off, s[20:23], 0  ; 4-byte Folded Reload
	s_waitcnt vmcnt(0) lgkmcnt(0)
	s_waitcnt_vscnt null, 0x0
	s_barrier
	buffer_gl0_inv
	v_add_nc_u32_e32 v255, 0x2400, v254
	v_add_nc_u32_e32 v16, 0x1400, v254
	;; [unrolled: 1-line block ×3, first 2 shown]
	v_lshlrev_b32_e32 v0, 3, v0
	v_add_co_u32 v201, s0, s12, v0
	v_add_co_ci_u32_e64 v205, null, s13, 0, s0
	v_add_co_u32 v194, s0, 0x3000, v201
	v_add_co_ci_u32_e64 v195, s0, 0, v205, s0
	v_add_co_u32 v202, s0, 0x4000, v201
	v_add_co_ci_u32_e64 v203, s0, 0, v205, s0
	s_clause 0x3
	global_load_dwordx2 v[198:199], v[194:195], off offset:1320
	global_load_dwordx2 v[210:211], v[202:203], off offset:248
	;; [unrolled: 1-line block ×4, first 2 shown]
	ds_read2_b64 v[194:197], v254 offset1:63
	s_waitcnt vmcnt(3) lgkmcnt(0)
	v_mul_f32_e32 v0, v195, v199
	v_mul_f32_e32 v207, v194, v199
	v_fma_f32 v206, v194, v198, -v0
	v_add_co_u32 v194, s0, 0x3528, v201
	v_fmac_f32_e32 v207, v195, v198
	v_add_co_ci_u32_e64 v195, s0, 0, v205, s0
	s_clause 0x3
	global_load_dwordx2 v[198:199], v[194:195], off offset:504
	global_load_dwordx2 v[216:217], v[194:195], off offset:1008
	;; [unrolled: 1-line block ×4, first 2 shown]
	v_add_co_u32 v194, s0, 0x5800, v201
	v_add_co_ci_u32_e64 v195, s0, 0, v205, s0
	ds_write_b64 v254, v[206:207]
	s_clause 0x3
	global_load_dwordx2 v[206:207], v[194:195], off offset:656
	global_load_dwordx2 v[224:225], v[194:195], off offset:1160
	;; [unrolled: 1-line block ×4, first 2 shown]
	s_waitcnt vmcnt(7)
	v_mul_f32_e32 v0, v197, v199
	v_mul_f32_e32 v223, v196, v199
	v_fma_f32 v222, v196, v198, -v0
	v_add_nc_u32_e32 v196, 0x2000, v254
	v_fmac_f32_e32 v223, v197, v198
	ds_read2_b64 v[197:200], v196 offset0:110 offset1:173
	s_waitcnt vmcnt(0) lgkmcnt(0)
	v_mul_f32_e32 v0, v198, v203
	v_mul_f32_e32 v229, v197, v203
	;; [unrolled: 1-line block ×3, first 2 shown]
	v_fma_f32 v228, v197, v202, -v0
	v_mul_f32_e32 v0, v200, v207
	v_fmac_f32_e32 v229, v198, v202
	v_add_co_u32 v198, s0, 0x4800, v201
	v_add_nc_u32_e32 v197, 0x1000, v254
	v_fma_f32 v230, v199, v206, -v0
	v_add_co_ci_u32_e64 v199, s0, 0, v205, s0
	s_clause 0x4
	global_load_dwordx2 v[202:203], v[198:199], off offset:720
	global_load_dwordx2 v[232:233], v[198:199], off offset:1224
	;; [unrolled: 1-line block ×5, first 2 shown]
	v_fmac_f32_e32 v231, v200, v206
	ds_read2_b64 v[206:209], v197 offset0:118 offset1:181
	s_waitcnt vmcnt(4) lgkmcnt(0)
	v_mul_f32_e32 v239, v208, v203
	s_waitcnt vmcnt(1)
	v_mul_f32_e32 v0, v207, v195
	v_mul_f32_e32 v237, v206, v195
	v_fmac_f32_e32 v239, v209, v202
	v_fma_f32 v236, v206, v194, -v0
	v_mul_f32_e32 v0, v209, v203
	v_fmac_f32_e32 v237, v207, v194
	v_add_nc_u32_e32 v203, 0x400, v254
	v_fma_f32 v238, v208, v202, -v0
	ds_read2_b64 v[206:209], v254 offset0:126 offset1:189
	v_add_nc_u32_e32 v202, 0x1c00, v254
	s_waitcnt lgkmcnt(0)
	v_mul_f32_e32 v0, v207, v217
	v_mul_f32_e32 v241, v206, v217
	v_mul_f32_e32 v217, v208, v219
	v_fma_f32 v240, v206, v216, -v0
	v_mul_f32_e32 v0, v209, v219
	v_fmac_f32_e32 v241, v207, v216
	v_fmac_f32_e32 v217, v209, v218
	v_fma_f32 v216, v208, v218, -v0
	ds_read2_b64 v[206:209], v255 offset0:108 offset1:171
	s_waitcnt lgkmcnt(0)
	v_mul_f32_e32 v0, v207, v225
	v_mul_f32_e32 v219, v206, v225
	;; [unrolled: 1-line block ×3, first 2 shown]
	v_fma_f32 v218, v206, v224, -v0
	v_mul_f32_e32 v0, v209, v235
	v_fmac_f32_e32 v219, v207, v224
	v_fmac_f32_e32 v225, v209, v234
	v_fma_f32 v224, v208, v234, -v0
	ds_read2_b64 v[206:209], v16 offset0:116 offset1:179
	s_waitcnt lgkmcnt(0)
	v_mul_f32_e32 v0, v207, v233
	v_mul_f32_e32 v235, v206, v233
	s_waitcnt vmcnt(0)
	v_mul_f32_e32 v249, v208, v199
	v_fma_f32 v234, v206, v232, -v0
	v_mul_f32_e32 v0, v209, v199
	v_fmac_f32_e32 v235, v207, v232
	v_add_co_u32 v232, s0, 0x6000, v201
	v_add_co_ci_u32_e64 v233, s0, 0, v205, s0
	v_fma_f32 v248, v208, v198, -v0
	v_fmac_f32_e32 v249, v209, v198
	v_add_co_u32 v198, s0, 0x3800, v201
	v_add_co_ci_u32_e64 v199, s0, 0, v205, s0
	s_clause 0x2
	global_load_dwordx2 v[242:243], v[232:233], off offset:120
	global_load_dwordx2 v[244:245], v[232:233], off offset:624
	;; [unrolled: 1-line block ×3, first 2 shown]
	ds_read2_b64 v[206:209], v203 offset0:124 offset1:187
	global_load_dwordx2 v[198:199], v[198:199], off offset:1792
	s_waitcnt lgkmcnt(0)
	v_mul_f32_e32 v0, v207, v221
	v_mul_f32_e32 v251, v206, v221
	v_fma_f32 v250, v206, v220, -v0
	v_fmac_f32_e32 v251, v207, v220
	v_add_co_u32 v220, s0, 0x5000, v201
	v_add_co_ci_u32_e64 v221, s0, 0, v205, s0
	s_clause 0x2
	global_load_dwordx2 v[252:253], v[220:221], off offset:184
	global_load_dwordx2 v[194:195], v[220:221], off offset:688
	;; [unrolled: 1-line block ×3, first 2 shown]
	s_waitcnt vmcnt(3)
	v_mul_f32_e32 v0, v209, v199
	v_mul_f32_e32 v193, v208, v199
	v_add_nc_u32_e32 v199, 0x1800, v254
	v_fma_f32 v192, v208, v198, -v0
	v_fmac_f32_e32 v193, v209, v198
	v_add_nc_u32_e32 v198, 0x2800, v254
	ds_read2_b64 v[206:209], v198 offset0:106 offset1:169
	s_waitcnt lgkmcnt(0)
	v_mul_f32_e32 v0, v207, v243
	v_mul_f32_e32 v141, v206, v243
	;; [unrolled: 1-line block ×3, first 2 shown]
	v_fma_f32 v140, v206, v242, -v0
	v_mul_f32_e32 v0, v209, v245
	v_fmac_f32_e32 v141, v207, v242
	v_fmac_f32_e32 v143, v209, v244
	v_fma_f32 v142, v208, v244, -v0
	ds_read2_b64 v[206:209], v199 offset0:114 offset1:177
	s_waitcnt vmcnt(2) lgkmcnt(0)
	v_mul_f32_e32 v0, v207, v253
	s_waitcnt vmcnt(1)
	v_mul_f32_e32 v245, v208, v195
	v_mul_f32_e32 v243, v206, v253
	v_fma_f32 v242, v206, v252, -v0
	v_mul_f32_e32 v0, v209, v195
	v_fmac_f32_e32 v245, v209, v194
	v_fmac_f32_e32 v243, v207, v252
	v_add_nc_u32_e32 v195, 0xc00, v254
	v_fma_f32 v244, v208, v194, -v0
	v_add_nc_u32_e32 v194, 0x800, v254
	ds_read2_b64 v[206:209], v194 offset0:122 offset1:185
	s_waitcnt lgkmcnt(0)
	v_mul_f32_e32 v0, v207, v211
	v_mul_f32_e32 v253, v206, v211
	;; [unrolled: 1-line block ×3, first 2 shown]
	v_fma_f32 v252, v206, v210, -v0
	v_mul_f32_e32 v0, v209, v213
	v_fmac_f32_e32 v253, v207, v210
	v_fmac_f32_e32 v211, v209, v212
	v_fma_f32 v210, v208, v212, -v0
	ds_read2_b64 v[206:209], v204 offset0:104 offset1:167
	s_waitcnt lgkmcnt(0)
	v_mul_f32_e32 v0, v207, v247
	v_mul_f32_e32 v213, v206, v247
	s_waitcnt vmcnt(0)
	v_mul_f32_e32 v247, v208, v233
	v_fma_f32 v212, v206, v246, -v0
	v_mul_f32_e32 v0, v209, v233
	v_fmac_f32_e32 v213, v207, v246
	v_fmac_f32_e32 v247, v209, v232
	v_fma_f32 v246, v208, v232, -v0
	ds_read2_b64 v[206:209], v195 offset0:120 offset1:183
	s_waitcnt lgkmcnt(0)
	v_mul_f32_e32 v0, v209, v227
	v_mul_f32_e32 v233, v208, v227
	;; [unrolled: 1-line block ×3, first 2 shown]
	v_fma_f32 v232, v208, v226, -v0
	v_mul_f32_e32 v0, v207, v215
	v_fmac_f32_e32 v233, v209, v226
	v_fmac_f32_e32 v227, v207, v214
	v_fma_f32 v226, v206, v214, -v0
	v_add_co_u32 v206, s0, 0x6800, v201
	v_add_co_ci_u32_e64 v207, s0, 0, v205, s0
	s_clause 0x2
	global_load_dwordx2 v[214:215], v[220:221], off offset:1192
	global_load_dwordx2 v[220:221], v[220:221], off offset:1696
	;; [unrolled: 1-line block ×3, first 2 shown]
	ds_read2_b64 v[205:208], v202 offset0:112 offset1:175
	s_waitcnt vmcnt(2) lgkmcnt(0)
	v_mul_f32_e32 v0, v206, v215
	v_mul_f32_e32 v145, v205, v215
	s_waitcnt vmcnt(1)
	v_mul_f32_e32 v147, v207, v221
	v_fma_f32 v144, v205, v214, -v0
	v_fmac_f32_e32 v145, v206, v214
	ds_read_b64 v[205:206], v254 offset:13104
	v_mul_f32_e32 v0, v208, v221
	v_fmac_f32_e32 v147, v208, v220
	v_fma_f32 v146, v207, v220, -v0
	s_waitcnt vmcnt(0) lgkmcnt(0)
	v_mul_f32_e32 v0, v206, v201
	v_mul_f32_e32 v208, v205, v201
	v_fma_f32 v207, v205, v200, -v0
	v_fmac_f32_e32 v208, v206, v200
	v_add_nc_u32_e32 v0, 0x3000, v254
	ds_write2_b64 v0, v[246:247], v[207:208] offset0:39 offset1:102
	ds_write2_b64 v197, v[232:233], v[236:237] offset0:55 offset1:118
	;; [unrolled: 1-line block ×13, first 2 shown]
	s_waitcnt lgkmcnt(0)
	s_barrier
	buffer_gl0_inv
	ds_read2_b64 v[205:208], v195 offset0:120 offset1:183
	ds_read2_b64 v[209:212], v196 offset0:110 offset1:173
	ds_read2_b64 v[213:216], v254 offset1:63
	s_waitcnt lgkmcnt(1)
	v_add_f32_e32 v0, v207, v209
	v_add_f32_e32 v1, v208, v210
	s_waitcnt lgkmcnt(0)
	v_fma_f32 v140, -0.5, v0, v213
	v_fma_f32 v141, -0.5, v1, v214
	v_add_f32_e32 v0, v213, v207
	v_add_f32_e32 v1, v214, v208
	;; [unrolled: 1-line block ×4, first 2 shown]
	v_sub_f32_e32 v0, v208, v210
	v_sub_f32_e32 v1, v207, v209
	ds_read_b64 v[146:147], v254 offset:13104
	ds_read2_b64 v[207:210], v197 offset0:118 offset1:181
	ds_read2_b64 v[217:220], v254 offset0:126 offset1:189
	;; [unrolled: 1-line block ×10, first 2 shown]
	s_waitcnt lgkmcnt(0)
	s_barrier
	buffer_gl0_inv
	buffer_load_dword v6, off, s[20:23], 0 offset:236 ; 4-byte Folded Reload
	v_fmamk_f32 v144, v0, 0xbf5db3d7, v140
	v_fmac_f32_e32 v140, 0x3f5db3d7, v0
	buffer_load_dword v0, off, s[20:23], 0 offset:488 ; 4-byte Folded Reload
	v_fmamk_f32 v145, v1, 0x3f5db3d7, v141
	v_fmac_f32_e32 v141, 0xbf5db3d7, v1
	v_add_f32_e32 v2, v215, v207
	v_add_f32_e32 v3, v216, v208
	;; [unrolled: 1-line block ×3, first 2 shown]
	v_sub_f32_e32 v5, v207, v211
	v_add_f32_e32 v1, v209, v221
	v_fmac_f32_e32 v216, -0.5, v4
	v_add_f32_e32 v4, v218, v210
	s_waitcnt vmcnt(1)
	ds_write2_b64 v6, v[142:143], v[144:145] offset1:1
	ds_write_b64 v6, v[140:141] offset:16
	buffer_load_dword v6, off, s[20:23], 0 offset:468 ; 4-byte Folded Reload
	v_add_f32_e32 v142, v2, v211
	v_add_f32_e32 v2, v207, v211
	;; [unrolled: 1-line block ×3, first 2 shown]
	v_sub_f32_e32 v3, v208, v212
	v_fmamk_f32 v141, v5, 0x3f5db3d7, v216
	v_fmac_f32_e32 v216, 0xbf5db3d7, v5
	v_fma_f32 v215, -0.5, v2, v215
	v_add_f32_e32 v2, v210, v222
	v_sub_f32_e32 v5, v209, v221
	v_fmamk_f32 v140, v3, 0xbf5db3d7, v215
	v_fmac_f32_e32 v215, 0x3f5db3d7, v3
	v_sub_f32_e32 v3, v210, v222
	s_waitcnt vmcnt(1)
	ds_write2_b64 v0, v[142:143], v[140:141] offset1:1
	ds_write_b64 v0, v[215:216] offset:16
	v_add_f32_e32 v0, v217, v209
	v_fma_f32 v140, -0.5, v1, v217
	v_fma_f32 v141, -0.5, v2, v218
	v_add_f32_e32 v143, v4, v222
	v_add_f32_e32 v1, v220, v226
	;; [unrolled: 1-line block ×3, first 2 shown]
	v_fmamk_f32 v144, v3, 0xbf5db3d7, v140
	v_fmamk_f32 v145, v5, 0x3f5db3d7, v141
	v_add_f32_e32 v0, v219, v225
	v_fmac_f32_e32 v140, 0x3f5db3d7, v3
	v_fmac_f32_e32 v141, 0xbf5db3d7, v5
	v_add_f32_e32 v2, v226, v224
	v_sub_f32_e32 v4, v225, v223
	v_add_f32_e32 v3, v230, v228
	v_sub_f32_e32 v5, v227, v233
	v_fmac_f32_e32 v220, -0.5, v2
	v_add_f32_e32 v2, v228, v234
	s_waitcnt vmcnt(0)
	ds_write2_b64 v6, v[142:143], v[144:145] offset1:1
	v_add_f32_e32 v142, v0, v223
	v_add_f32_e32 v0, v225, v223
	ds_write_b64 v6, v[140:141] offset:16
	buffer_load_dword v6, off, s[20:23], 0 offset:464 ; 4-byte Folded Reload
	v_add_f32_e32 v143, v1, v224
	v_sub_f32_e32 v1, v226, v224
	v_fma_f32 v219, -0.5, v0, v219
	buffer_load_dword v0, off, s[20:23], 0 offset:472 ; 4-byte Folded Reload
	v_fmamk_f32 v141, v4, 0x3f5db3d7, v220
	v_fmac_f32_e32 v220, 0xbf5db3d7, v4
	v_sub_f32_e32 v4, v228, v234
	v_fmamk_f32 v140, v1, 0xbf5db3d7, v219
	v_fmac_f32_e32 v219, 0x3f5db3d7, v1
	v_add_f32_e32 v1, v227, v233
	s_waitcnt vmcnt(0)
	ds_write2_b64 v0, v[142:143], v[140:141] offset1:1
	ds_write_b64 v0, v[219:220] offset:16
	v_add_f32_e32 v0, v229, v227
	v_fma_f32 v140, -0.5, v1, v229
	v_fma_f32 v141, -0.5, v2, v230
	v_add_f32_e32 v143, v3, v234
	v_add_f32_e32 v1, v232, v238
	;; [unrolled: 1-line block ×3, first 2 shown]
	v_fmamk_f32 v144, v4, 0xbf5db3d7, v140
	v_fmamk_f32 v145, v5, 0x3f5db3d7, v141
	v_add_f32_e32 v0, v231, v237
	v_fmac_f32_e32 v140, 0x3f5db3d7, v4
	v_fmac_f32_e32 v141, 0xbf5db3d7, v5
	v_add_f32_e32 v2, v238, v236
	ds_write2_b64 v6, v[142:143], v[144:145] offset1:1
	v_add_f32_e32 v142, v0, v235
	v_add_f32_e32 v0, v237, v235
	ds_write_b64 v6, v[140:141] offset:16
	buffer_load_dword v6, off, s[20:23], 0 offset:484 ; 4-byte Folded Reload
	v_add_f32_e32 v143, v1, v236
	v_sub_f32_e32 v1, v238, v236
	v_fma_f32 v231, -0.5, v0, v231
	buffer_load_dword v0, off, s[20:23], 0 offset:480 ; 4-byte Folded Reload
	v_sub_f32_e32 v3, v237, v235
	v_fmac_f32_e32 v232, -0.5, v2
	v_add_f32_e32 v2, v240, v246
	v_fmamk_f32 v140, v1, 0xbf5db3d7, v231
	v_fmac_f32_e32 v231, 0x3f5db3d7, v1
	v_add_f32_e32 v1, v239, v245
	v_fmamk_f32 v141, v3, 0x3f5db3d7, v232
	v_fmac_f32_e32 v232, 0xbf5db3d7, v3
	v_add_f32_e32 v3, v242, v240
	v_sub_f32_e32 v4, v240, v246
	v_sub_f32_e32 v5, v239, v245
	s_waitcnt vmcnt(0)
	ds_write2_b64 v0, v[142:143], v[140:141] offset1:1
	ds_write_b64 v0, v[231:232] offset:16
	v_add_f32_e32 v0, v241, v239
	v_fma_f32 v140, -0.5, v1, v241
	v_fma_f32 v141, -0.5, v2, v242
	v_add_f32_e32 v143, v3, v246
	v_add_f32_e32 v1, v244, v250
	;; [unrolled: 1-line block ×3, first 2 shown]
	v_fmamk_f32 v144, v4, 0xbf5db3d7, v140
	v_fmamk_f32 v145, v5, 0x3f5db3d7, v141
	v_add_f32_e32 v0, v243, v249
	v_add_f32_e32 v2, v250, v248
	v_sub_f32_e32 v3, v249, v247
	v_fmac_f32_e32 v140, 0x3f5db3d7, v4
	ds_write2_b64 v6, v[142:143], v[144:145] offset1:1
	v_add_f32_e32 v142, v0, v247
	v_add_f32_e32 v0, v249, v247
	;; [unrolled: 1-line block ×3, first 2 shown]
	v_sub_f32_e32 v1, v250, v248
	v_fmac_f32_e32 v141, 0xbf5db3d7, v5
	v_fmac_f32_e32 v244, -0.5, v2
	v_fma_f32 v243, -0.5, v0, v243
	buffer_load_dword v0, off, s[20:23], 0 offset:476 ; 4-byte Folded Reload
	v_add_f32_e32 v4, v252, v147
	ds_write_b64 v6, v[140:141] offset:16
	v_fmamk_f32 v141, v3, 0x3f5db3d7, v244
	v_fmamk_f32 v140, v1, 0xbf5db3d7, v243
	v_fmac_f32_e32 v243, 0x3f5db3d7, v1
	v_fmac_f32_e32 v244, 0xbf5db3d7, v3
	v_add_f32_e32 v1, v251, v146
	v_add_f32_e32 v2, v206, v252
	v_sub_f32_e32 v3, v252, v147
	v_sub_f32_e32 v5, v251, v146
	v_fmac_f32_e32 v206, -0.5, v4
	s_waitcnt vmcnt(0)
	ds_write2_b64 v0, v[142:143], v[140:141] offset1:1
	ds_write_b64 v0, v[243:244] offset:16
	v_add_f32_e32 v0, v205, v251
	v_fma_f32 v205, -0.5, v1, v205
	v_add_f32_e32 v141, v2, v147
	v_fmamk_f32 v143, v5, 0x3f5db3d7, v206
	v_fmac_f32_e32 v206, 0xbf5db3d7, v5
	v_add_f32_e32 v140, v0, v146
	buffer_load_dword v0, off, s[20:23], 0 offset:460 ; 4-byte Folded Reload
	v_fmamk_f32 v142, v3, 0xbf5db3d7, v205
	v_fmac_f32_e32 v205, 0x3f5db3d7, v3
	s_waitcnt vmcnt(0)
	ds_write2_b64 v0, v[140:141], v[142:143] offset1:1
	ds_write_b64 v0, v[205:206] offset:16
	s_waitcnt lgkmcnt(0)
	s_barrier
	buffer_gl0_inv
	ds_read_b64 v[140:141], v254 offset:13104
	ds_read2_b64 v[206:209], v202 offset0:112 offset1:175
	s_waitcnt lgkmcnt(1)
	v_mul_f32_e32 v205, v187, v141
	v_mul_f32_e32 v0, v187, v140
	s_waitcnt lgkmcnt(0)
	v_mul_f32_e32 v1, v185, v209
	v_mul_f32_e32 v2, v185, v208
	;; [unrolled: 1-line block ×3, first 2 shown]
	v_fmac_f32_e32 v205, v186, v140
	v_fma_f32 v0, v186, v141, -v0
	v_fmac_f32_e32 v1, v184, v208
	v_fma_f32 v2, v184, v209, -v2
	ds_read2_b64 v[184:187], v204 offset0:104 offset1:167
	v_mul_f32_e32 v4, v181, v206
	v_fmac_f32_e32 v3, v180, v206
	v_fma_f32 v4, v180, v207, -v4
	s_waitcnt lgkmcnt(0)
	v_mul_f32_e32 v7, v179, v185
	v_mul_f32_e32 v8, v179, v184
	;; [unrolled: 1-line block ×4, first 2 shown]
	v_fmac_f32_e32 v7, v178, v184
	v_fma_f32 v8, v178, v185, -v8
	ds_read2_b64 v[178:181], v199 offset0:114 offset1:177
	v_fmac_f32_e32 v5, v182, v186
	v_fma_f32 v6, v182, v187, -v6
	s_waitcnt lgkmcnt(0)
	v_mul_f32_e32 v9, v177, v181
	v_mul_f32_e32 v10, v177, v180
	;; [unrolled: 1-line block ×4, first 2 shown]
	v_fmac_f32_e32 v9, v176, v180
	v_fma_f32 v10, v176, v181, -v10
	v_fmac_f32_e32 v11, v172, v178
	v_fma_f32 v12, v172, v179, -v12
	ds_read2_b64 v[176:179], v198 offset0:106 offset1:169
	s_waitcnt lgkmcnt(0)
	v_mul_f32_e32 v15, v171, v177
	v_mul_f32_e32 v140, v171, v176
	;; [unrolled: 1-line block ×4, first 2 shown]
	v_fmac_f32_e32 v15, v170, v176
	v_fma_f32 v146, v170, v177, -v140
	ds_read2_b64 v[170:173], v16 offset0:116 offset1:179
	v_fmac_f32_e32 v13, v174, v178
	v_fma_f32 v14, v174, v179, -v14
	s_waitcnt lgkmcnt(0)
	v_mul_f32_e32 v140, v169, v172
	v_mul_f32_e32 v147, v169, v173
	v_mul_f32_e32 v149, v165, v171
	v_fma_f32 v148, v168, v173, -v140
	v_mul_f32_e32 v140, v165, v170
	v_fmac_f32_e32 v147, v168, v172
	v_fmac_f32_e32 v149, v164, v170
	v_fma_f32 v150, v164, v171, -v140
	ds_read2_b64 v[168:171], v255 offset0:108 offset1:171
	s_waitcnt lgkmcnt(0)
	v_mul_f32_e32 v140, v167, v170
	v_mul_f32_e32 v173, v163, v169
	v_mul_f32_e32 v151, v167, v171
	v_fma_f32 v172, v166, v171, -v140
	v_mul_f32_e32 v140, v163, v168
	v_fmac_f32_e32 v173, v162, v168
	v_fmac_f32_e32 v151, v166, v170
	v_fma_f32 v174, v162, v169, -v140
	ds_read2_b64 v[162:165], v197 offset0:118 offset1:181
	;; [unrolled: 10-line block ×4, first 2 shown]
	s_waitcnt lgkmcnt(0)
	v_mul_f32_e32 v145, v153, v157
	v_mul_f32_e32 v141, v153, v156
	v_fmac_f32_e32 v145, v152, v156
	v_fma_f32 v141, v152, v157, -v141
	ds_read2_b64 v[156:159], v254 offset1:63
	ds_read2_b64 v[160:163], v254 offset0:126 offset1:189
	ds_read2_b64 v[164:167], v203 offset0:124 offset1:187
	;; [unrolled: 1-line block ×3, first 2 shown]
	s_waitcnt lgkmcnt(0)
	s_barrier
	v_add_f32_e32 v143, v141, v140
	v_sub_f32_e32 v152, v141, v140
	buffer_gl0_inv
	v_sub_f32_e32 v153, v145, v144
	v_add_f32_e32 v142, v157, v141
	v_fma_f32 v143, -0.5, v143, v157
	v_add_f32_e32 v141, v142, v140
	v_add_f32_e32 v142, v145, v144
	;; [unrolled: 1-line block ×3, first 2 shown]
	v_fmamk_f32 v145, v153, 0x3f5db3d7, v143
	v_fmac_f32_e32 v143, 0xbf5db3d7, v153
	v_sub_f32_e32 v153, v175, v173
	v_fma_f32 v142, -0.5, v142, v156
	buffer_load_dword v156, off, s[20:23], 0 offset:436 ; 4-byte Folded Reload
	v_add_f32_e32 v140, v140, v144
	v_fmamk_f32 v144, v152, 0xbf5db3d7, v142
	v_fmac_f32_e32 v142, 0x3f5db3d7, v152
	buffer_load_dword v152, off, s[20:23], 0 offset:440 ; 4-byte Folded Reload
	s_waitcnt vmcnt(1)
	ds_write2_b64 v156, v[140:141], v[144:145] offset1:3
	ds_write_b64 v156, v[142:143] offset:48
	buffer_load_dword v156, off, s[20:23], 0 offset:432 ; 4-byte Folded Reload
	v_add_f32_e32 v140, v177, v179
	v_add_f32_e32 v143, v178, v180
	;; [unrolled: 1-line block ×3, first 2 shown]
	v_sub_f32_e32 v144, v178, v180
	v_sub_f32_e32 v145, v177, v179
	v_fma_f32 v158, -0.5, v140, v158
	v_add_f32_e32 v140, v159, v178
	v_fmac_f32_e32 v159, -0.5, v143
	v_add_f32_e32 v141, v140, v180
	v_add_f32_e32 v140, v142, v179
	v_fmamk_f32 v142, v144, 0xbf5db3d7, v158
	v_fmamk_f32 v143, v145, 0x3f5db3d7, v159
	v_fmac_f32_e32 v158, 0x3f5db3d7, v144
	v_fmac_f32_e32 v159, 0xbf5db3d7, v145
	s_waitcnt vmcnt(1)
	ds_write2_b64 v152, v[140:141], v[142:143] offset1:3
	v_add_f32_e32 v140, v161, v176
	v_add_f32_e32 v143, v176, v174
	;; [unrolled: 1-line block ×3, first 2 shown]
	ds_write_b64 v152, v[158:159] offset:48
	v_sub_f32_e32 v152, v176, v174
	v_add_f32_e32 v141, v140, v174
	v_add_f32_e32 v140, v160, v175
	v_fma_f32 v142, -0.5, v142, v160
	v_fma_f32 v143, -0.5, v143, v161
	v_add_f32_e32 v140, v140, v173
	v_fmamk_f32 v144, v152, 0xbf5db3d7, v142
	v_fmamk_f32 v145, v153, 0x3f5db3d7, v143
	v_fmac_f32_e32 v142, 0x3f5db3d7, v152
	v_fmac_f32_e32 v143, 0xbf5db3d7, v153
	s_waitcnt vmcnt(0)
	ds_write2_b64 v156, v[140:141], v[144:145] offset1:3
	ds_write_b64 v156, v[142:143] offset:48
	v_add_f32_e32 v140, v149, v151
	v_add_f32_e32 v142, v162, v149
	v_sub_f32_e32 v145, v149, v151
	buffer_load_dword v149, off, s[20:23], 0 offset:428 ; 4-byte Folded Reload
	v_add_f32_e32 v143, v150, v172
	v_fma_f32 v162, -0.5, v140, v162
	v_add_f32_e32 v140, v163, v150
	v_sub_f32_e32 v144, v150, v172
	v_fmac_f32_e32 v163, -0.5, v143
	v_add_f32_e32 v141, v140, v172
	v_add_f32_e32 v140, v142, v151
	v_fmamk_f32 v142, v144, 0xbf5db3d7, v162
	v_fmamk_f32 v143, v145, 0x3f5db3d7, v163
	v_fmac_f32_e32 v162, 0x3f5db3d7, v144
	v_fmac_f32_e32 v163, 0xbf5db3d7, v145
	s_waitcnt vmcnt(0)
	ds_write2_b64 v149, v[140:141], v[142:143] offset1:3
	v_add_f32_e32 v140, v165, v148
	v_add_f32_e32 v143, v148, v146
	v_sub_f32_e32 v148, v148, v146
	v_add_f32_e32 v142, v147, v15
	ds_write_b64 v149, v[162:163] offset:48
	v_add_f32_e32 v141, v140, v146
	buffer_load_dword v146, off, s[20:23], 0 offset:424 ; 4-byte Folded Reload
	v_add_f32_e32 v140, v164, v147
	v_fma_f32 v142, -0.5, v142, v164
	v_fma_f32 v143, -0.5, v143, v165
	v_add_f32_e32 v140, v140, v15
	v_sub_f32_e32 v15, v147, v15
	v_fmamk_f32 v144, v148, 0xbf5db3d7, v142
	v_fmac_f32_e32 v142, 0x3f5db3d7, v148
	v_fmamk_f32 v145, v15, 0x3f5db3d7, v143
	v_fmac_f32_e32 v143, 0xbf5db3d7, v15
	v_add_f32_e32 v15, v11, v13
	s_waitcnt vmcnt(0)
	ds_write2_b64 v146, v[140:141], v[144:145] offset1:3
	v_add_f32_e32 v140, v166, v11
	v_sub_f32_e32 v11, v11, v13
	ds_write_b64 v146, v[142:143] offset:48
	v_add_f32_e32 v142, v12, v14
	v_fma_f32 v166, -0.5, v15, v166
	v_add_f32_e32 v140, v140, v13
	buffer_load_dword v13, off, s[20:23], 0 offset:420 ; 4-byte Folded Reload
	v_add_f32_e32 v15, v167, v12
	v_sub_f32_e32 v12, v12, v14
	v_fmac_f32_e32 v167, -0.5, v142
	v_add_f32_e32 v141, v15, v14
	v_fmamk_f32 v142, v12, 0xbf5db3d7, v166
	v_fmamk_f32 v143, v11, 0x3f5db3d7, v167
	v_fmac_f32_e32 v167, 0xbf5db3d7, v11
	v_add_f32_e32 v11, v169, v10
	v_fmac_f32_e32 v166, 0x3f5db3d7, v12
	v_add_f32_e32 v12, v10, v8
	v_sub_f32_e32 v10, v10, v8
	s_waitcnt vmcnt(0)
	ds_write2_b64 v13, v[140:141], v[142:143] offset1:3
	v_add_f32_e32 v141, v11, v8
	v_add_f32_e32 v8, v168, v9
	v_fma_f32 v143, -0.5, v12, v169
	ds_write_b64 v13, v[166:167] offset:48
	v_add_f32_e32 v140, v8, v7
	v_add_f32_e32 v8, v9, v7
	v_sub_f32_e32 v7, v9, v7
	v_add_f32_e32 v9, v4, v6
	v_fma_f32 v142, -0.5, v8, v168
	buffer_load_dword v8, off, s[20:23], 0 offset:416 ; 4-byte Folded Reload
	v_fmamk_f32 v145, v7, 0x3f5db3d7, v143
	v_fmac_f32_e32 v143, 0xbf5db3d7, v7
	v_add_f32_e32 v7, v3, v5
	v_fmamk_f32 v144, v10, 0xbf5db3d7, v142
	v_fmac_f32_e32 v142, 0x3f5db3d7, v10
	s_waitcnt vmcnt(0)
	ds_write2_b64 v8, v[140:141], v[144:145] offset1:3
	ds_write_b64 v8, v[142:143] offset:48
	v_add_f32_e32 v8, v170, v3
	v_sub_f32_e32 v3, v3, v5
	v_fma_f32 v170, -0.5, v7, v170
	v_add_f32_e32 v7, v171, v4
	v_sub_f32_e32 v4, v4, v6
	v_add_f32_e32 v140, v8, v5
	buffer_load_dword v5, off, s[20:23], 0 offset:408 ; 4-byte Folded Reload
	v_fmac_f32_e32 v171, -0.5, v9
	v_add_f32_e32 v141, v7, v6
	v_fmamk_f32 v142, v4, 0xbf5db3d7, v170
	v_fmac_f32_e32 v170, 0x3f5db3d7, v4
	v_add_f32_e32 v4, v154, v1
	v_fmamk_f32 v143, v3, 0x3f5db3d7, v171
	v_fmac_f32_e32 v171, 0xbf5db3d7, v3
	v_add_f32_e32 v3, v1, v205
	v_fma_f32 v154, -0.5, v3, v154
	v_add_f32_e32 v3, v2, v0
	s_waitcnt vmcnt(0)
	ds_write2_b64 v5, v[140:141], v[142:143] offset1:3
	ds_write_b64 v5, v[170:171] offset:48
	v_add_f32_e32 v5, v155, v2
	v_sub_f32_e32 v2, v2, v0
	v_fmac_f32_e32 v155, -0.5, v3
	v_add_f32_e32 v140, v4, v205
	v_add_f32_e32 v141, v5, v0
	v_sub_f32_e32 v0, v1, v205
	buffer_load_dword v1, off, s[20:23], 0 offset:412 ; 4-byte Folded Reload
	v_fmamk_f32 v142, v2, 0xbf5db3d7, v154
	v_fmac_f32_e32 v154, 0x3f5db3d7, v2
	v_fmamk_f32 v143, v0, 0x3f5db3d7, v155
	v_fmac_f32_e32 v155, 0xbf5db3d7, v0
	s_waitcnt vmcnt(0)
	ds_write2_b64 v1, v[140:141], v[142:143] offset1:3
	ds_write_b64 v1, v[154:155] offset:48
	s_waitcnt lgkmcnt(0)
	s_barrier
	buffer_gl0_inv
	ds_read_b64 v[140:141], v254 offset:13104
	ds_read2_b64 v[152:155], v202 offset0:112 offset1:175
	s_waitcnt lgkmcnt(1)
	v_mul_f32_e32 v0, v139, v141
	v_mul_f32_e32 v1, v139, v140
	s_waitcnt lgkmcnt(0)
	v_mul_f32_e32 v2, v137, v155
	v_mul_f32_e32 v3, v137, v154
	;; [unrolled: 1-line block ×3, first 2 shown]
	v_fmac_f32_e32 v0, v138, v140
	v_fma_f32 v1, v138, v141, -v1
	v_fmac_f32_e32 v2, v136, v154
	v_fma_f32 v3, v136, v155, -v3
	ds_read2_b64 v[136:139], v204 offset0:104 offset1:167
	v_mul_f32_e32 v5, v133, v152
	v_fmac_f32_e32 v4, v132, v152
	v_fma_f32 v5, v132, v153, -v5
	s_waitcnt lgkmcnt(0)
	v_mul_f32_e32 v8, v131, v137
	v_mul_f32_e32 v9, v131, v136
	;; [unrolled: 1-line block ×4, first 2 shown]
	v_fmac_f32_e32 v8, v130, v136
	v_fma_f32 v9, v130, v137, -v9
	ds_read2_b64 v[130:133], v199 offset0:114 offset1:177
	v_fmac_f32_e32 v6, v134, v138
	v_fma_f32 v7, v134, v139, -v7
	s_waitcnt lgkmcnt(0)
	v_mul_f32_e32 v10, v129, v133
	v_mul_f32_e32 v11, v129, v132
	;; [unrolled: 1-line block ×4, first 2 shown]
	v_fmac_f32_e32 v10, v128, v132
	v_fma_f32 v11, v128, v133, -v11
	v_fmac_f32_e32 v12, v124, v130
	v_fma_f32 v13, v124, v131, -v13
	ds_read2_b64 v[128:131], v198 offset0:106 offset1:169
	s_waitcnt lgkmcnt(0)
	v_mul_f32_e32 v14, v127, v131
	v_mul_f32_e32 v15, v127, v130
	v_fmac_f32_e32 v14, v126, v130
	v_fma_f32 v15, v126, v131, -v15
	v_mul_f32_e32 v126, v123, v129
	v_mul_f32_e32 v123, v123, v128
	v_fmac_f32_e32 v126, v122, v128
	v_fma_f32 v127, v122, v129, -v123
	ds_read2_b64 v[122:125], v16 offset0:116 offset1:179
	s_waitcnt lgkmcnt(0)
	v_mul_f32_e32 v128, v121, v125
	v_mul_f32_e32 v121, v121, v124
	;; [unrolled: 1-line block ×4, first 2 shown]
	v_fmac_f32_e32 v128, v120, v124
	v_fma_f32 v129, v120, v125, -v121
	v_fmac_f32_e32 v130, v116, v122
	v_fma_f32 v131, v116, v123, -v117
	ds_read2_b64 v[120:123], v255 offset0:108 offset1:171
	s_waitcnt lgkmcnt(0)
	v_mul_f32_e32 v116, v119, v122
	v_mul_f32_e32 v134, v115, v121
	;; [unrolled: 1-line block ×4, first 2 shown]
	v_fma_f32 v133, v118, v123, -v116
	v_fmac_f32_e32 v134, v114, v120
	v_fma_f32 v135, v114, v121, -v115
	ds_read2_b64 v[114:117], v197 offset0:118 offset1:181
	v_fmac_f32_e32 v132, v118, v122
	s_waitcnt lgkmcnt(0)
	v_mul_f32_e32 v136, v113, v117
	v_mul_f32_e32 v113, v113, v116
	;; [unrolled: 1-line block ×4, first 2 shown]
	v_fmac_f32_e32 v136, v112, v116
	v_fma_f32 v137, v112, v117, -v113
	v_fmac_f32_e32 v138, v108, v114
	v_fma_f32 v139, v108, v115, -v109
	ds_read2_b64 v[112:115], v196 offset0:110 offset1:173
	s_waitcnt lgkmcnt(0)
	v_mul_f32_e32 v140, v111, v115
	v_mul_f32_e32 v108, v111, v114
	v_fmac_f32_e32 v140, v110, v114
	v_mul_f32_e32 v114, v107, v113
	v_mul_f32_e32 v107, v107, v112
	v_fma_f32 v141, v110, v115, -v108
	v_fmac_f32_e32 v114, v106, v112
	v_fma_f32 v112, v106, v113, -v107
	ds_read2_b64 v[106:109], v195 offset0:120 offset1:183
	s_waitcnt lgkmcnt(0)
	v_mul_f32_e32 v113, v105, v109
	v_mul_f32_e32 v105, v105, v108
	v_fmac_f32_e32 v113, v104, v108
	v_fma_f32 v104, v104, v109, -v105
	ds_read2_b64 v[108:111], v254 offset1:63
	v_sub_f32_e32 v143, v113, v114
	v_add_f32_e32 v115, v104, v112
	v_sub_f32_e32 v142, v104, v112
	s_waitcnt lgkmcnt(0)
	v_add_f32_e32 v105, v109, v104
	v_add_f32_e32 v104, v108, v113
	v_fma_f32 v109, -0.5, v115, v109
	v_add_f32_e32 v105, v105, v112
	v_add_f32_e32 v112, v113, v114
	;; [unrolled: 1-line block ×3, first 2 shown]
	v_fmamk_f32 v125, v143, 0x3f5db3d7, v109
	v_fmac_f32_e32 v109, 0xbf5db3d7, v143
	v_fma_f32 v108, -0.5, v112, v108
	ds_read2_b64 v[112:115], v254 offset0:126 offset1:189
	ds_read2_b64 v[116:119], v203 offset0:124 offset1:187
	;; [unrolled: 1-line block ×3, first 2 shown]
	s_waitcnt lgkmcnt(0)
	s_barrier
	buffer_gl0_inv
	buffer_load_dword v144, off, s[20:23], 0 offset:396 ; 4-byte Folded Reload
	v_fmamk_f32 v124, v142, 0xbf5db3d7, v108
	v_fmac_f32_e32 v108, 0x3f5db3d7, v142
	s_waitcnt vmcnt(0)
	ds_write2_b64 v144, v[104:105], v[124:125] offset1:9
	ds_write_b64 v144, v[108:109] offset:144
	v_add_f32_e32 v104, v138, v140
	v_add_f32_e32 v108, v110, v138
	v_sub_f32_e32 v125, v138, v140
	buffer_load_dword v138, off, s[20:23], 0 offset:404 ; 4-byte Folded Reload
	v_add_f32_e32 v109, v139, v141
	v_fma_f32 v110, -0.5, v104, v110
	v_add_f32_e32 v104, v111, v139
	v_sub_f32_e32 v124, v139, v141
	v_fmac_f32_e32 v111, -0.5, v109
	v_add_f32_e32 v105, v104, v141
	v_add_f32_e32 v104, v108, v140
	v_fmamk_f32 v108, v124, 0xbf5db3d7, v110
	v_fmamk_f32 v109, v125, 0x3f5db3d7, v111
	v_fmac_f32_e32 v110, 0x3f5db3d7, v124
	v_fmac_f32_e32 v111, 0xbf5db3d7, v125
	v_sub_f32_e32 v124, v137, v135
	s_waitcnt vmcnt(0)
	ds_write2_b64 v138, v[104:105], v[108:109] offset1:9
	v_add_f32_e32 v109, v137, v135
	v_add_f32_e32 v104, v113, v137
	;; [unrolled: 1-line block ×3, first 2 shown]
	ds_write_b64 v138, v[110:111] offset:144
	v_fma_f32 v109, -0.5, v109, v113
	buffer_load_dword v113, off, s[20:23], 0 offset:400 ; 4-byte Folded Reload
	v_add_f32_e32 v105, v104, v135
	v_add_f32_e32 v104, v112, v136
	v_fma_f32 v108, -0.5, v108, v112
	v_sub_f32_e32 v112, v136, v134
	v_add_f32_e32 v104, v104, v134
	v_fmamk_f32 v110, v124, 0xbf5db3d7, v108
	v_fmamk_f32 v111, v112, 0x3f5db3d7, v109
	v_fmac_f32_e32 v109, 0xbf5db3d7, v112
	buffer_load_dword v112, off, s[20:23], 0 offset:392 ; 4-byte Folded Reload
	v_fmac_f32_e32 v108, 0x3f5db3d7, v124
	s_waitcnt vmcnt(1)
	ds_write2_b64 v113, v[104:105], v[110:111] offset1:9
	ds_write_b64 v113, v[108:109] offset:144
	v_add_f32_e32 v104, v130, v132
	v_add_f32_e32 v109, v131, v133
	;; [unrolled: 1-line block ×3, first 2 shown]
	v_sub_f32_e32 v110, v131, v133
	v_sub_f32_e32 v111, v130, v132
	v_fma_f32 v114, -0.5, v104, v114
	v_add_f32_e32 v104, v115, v131
	v_fmac_f32_e32 v115, -0.5, v109
	v_sub_f32_e32 v113, v128, v126
	v_add_f32_e32 v105, v104, v133
	v_add_f32_e32 v104, v108, v132
	v_fmamk_f32 v108, v110, 0xbf5db3d7, v114
	v_fmamk_f32 v109, v111, 0x3f5db3d7, v115
	v_fmac_f32_e32 v114, 0x3f5db3d7, v110
	v_fmac_f32_e32 v115, 0xbf5db3d7, v111
	s_waitcnt vmcnt(0)
	ds_write2_b64 v112, v[104:105], v[108:109] offset1:9
	v_add_f32_e32 v104, v117, v129
	ds_write_b64 v112, v[114:115] offset:144
	buffer_load_dword v114, off, s[20:23], 0 offset:388 ; 4-byte Folded Reload
	v_add_f32_e32 v109, v129, v127
	v_add_f32_e32 v108, v128, v126
	v_sub_f32_e32 v112, v129, v127
	v_add_f32_e32 v105, v104, v127
	v_add_f32_e32 v104, v116, v128
	v_fma_f32 v109, -0.5, v109, v117
	v_fma_f32 v108, -0.5, v108, v116
	v_add_f32_e32 v104, v104, v126
	v_fmamk_f32 v111, v113, 0x3f5db3d7, v109
	v_fmamk_f32 v110, v112, 0xbf5db3d7, v108
	v_fmac_f32_e32 v108, 0x3f5db3d7, v112
	v_fmac_f32_e32 v109, 0xbf5db3d7, v113
	s_waitcnt vmcnt(0)
	ds_write2_b64 v114, v[104:105], v[110:111] offset1:9
	v_add_f32_e32 v104, v12, v14
	ds_write_b64 v114, v[108:109] offset:144
	v_add_f32_e32 v108, v118, v12
	v_sub_f32_e32 v12, v12, v14
	v_add_f32_e32 v109, v13, v15
	v_fma_f32 v118, -0.5, v104, v118
	v_add_f32_e32 v104, v119, v13
	v_sub_f32_e32 v13, v13, v15
	v_fmac_f32_e32 v119, -0.5, v109
	v_add_f32_e32 v105, v104, v15
	v_add_f32_e32 v104, v108, v14
	buffer_load_dword v14, off, s[20:23], 0 offset:384 ; 4-byte Folded Reload
	v_fmamk_f32 v108, v13, 0xbf5db3d7, v118
	v_fmamk_f32 v109, v12, 0x3f5db3d7, v119
	v_fmac_f32_e32 v119, 0xbf5db3d7, v12
	v_add_f32_e32 v12, v121, v11
	v_fmac_f32_e32 v118, 0x3f5db3d7, v13
	v_add_f32_e32 v13, v11, v9
	v_sub_f32_e32 v11, v11, v9
	s_waitcnt vmcnt(0)
	ds_write2_b64 v14, v[104:105], v[108:109] offset1:9
	v_add_f32_e32 v105, v12, v9
	buffer_load_dword v12, off, s[20:23], 0 offset:372 ; 4-byte Folded Reload
	v_add_f32_e32 v9, v120, v10
	v_fma_f32 v109, -0.5, v13, v121
	ds_write_b64 v14, v[118:119] offset:144
	v_add_f32_e32 v104, v9, v8
	v_add_f32_e32 v9, v10, v8
	v_sub_f32_e32 v8, v10, v8
	v_add_f32_e32 v10, v5, v7
	v_fma_f32 v108, -0.5, v9, v120
	v_fmamk_f32 v111, v8, 0x3f5db3d7, v109
	v_fmac_f32_e32 v109, 0xbf5db3d7, v8
	v_add_f32_e32 v8, v4, v6
	v_add_f32_e32 v9, v122, v4
	v_fmamk_f32 v110, v11, 0xbf5db3d7, v108
	v_sub_f32_e32 v4, v4, v6
	v_fmac_f32_e32 v108, 0x3f5db3d7, v11
	v_fma_f32 v122, -0.5, v8, v122
	v_add_f32_e32 v8, v123, v5
	v_sub_f32_e32 v5, v5, v7
	v_fmac_f32_e32 v123, -0.5, v10
	v_fmamk_f32 v112, v5, 0xbf5db3d7, v122
	v_fmamk_f32 v113, v4, 0x3f5db3d7, v123
	v_fmac_f32_e32 v122, 0x3f5db3d7, v5
	v_fmac_f32_e32 v123, 0xbf5db3d7, v4
	s_waitcnt vmcnt(0)
	ds_write2_b64 v12, v[104:105], v[110:111] offset1:9
	v_add_f32_e32 v104, v9, v6
	v_add_f32_e32 v6, v2, v0
	;; [unrolled: 1-line block ×5, first 2 shown]
	ds_write_b64 v12, v[108:109] offset:144
	v_fma_f32 v106, -0.5, v6, v106
	v_add_f32_e32 v6, v3, v1
	v_add_f32_e32 v110, v7, v0
	v_sub_f32_e32 v0, v2, v0
	v_sub_f32_e32 v3, v3, v1
	v_add_f32_e32 v111, v8, v1
	v_fmac_f32_e32 v107, -0.5, v6
	v_fmamk_f32 v114, v3, 0xbf5db3d7, v106
	v_fmac_f32_e32 v106, 0x3f5db3d7, v3
	v_fmamk_f32 v115, v0, 0x3f5db3d7, v107
	v_fmac_f32_e32 v107, 0xbf5db3d7, v0
	buffer_load_dword v0, off, s[20:23], 0 offset:376 ; 4-byte Folded Reload
	s_waitcnt vmcnt(0)
	ds_write2_b64 v0, v[104:105], v[112:113] offset1:9
	ds_write_b64 v0, v[122:123] offset:144
	buffer_load_dword v0, off, s[20:23], 0 offset:380 ; 4-byte Folded Reload
	s_waitcnt vmcnt(0)
	ds_write2_b64 v0, v[110:111], v[114:115] offset1:9
	ds_write_b64 v0, v[106:107] offset:144
	s_waitcnt lgkmcnt(0)
	s_barrier
	buffer_gl0_inv
	ds_read2_b64 v[104:107], v195 offset0:120 offset1:183
	ds_read2_b64 v[108:111], v196 offset0:110 offset1:173
	;; [unrolled: 1-line block ×4, first 2 shown]
	s_waitcnt lgkmcnt(3)
	v_mul_f32_e32 v0, v73, v107
	v_mul_f32_e32 v1, v73, v106
	s_waitcnt lgkmcnt(2)
	v_mul_f32_e32 v2, v75, v109
	v_mul_f32_e32 v3, v75, v108
	;; [unrolled: 1-line block ×3, first 2 shown]
	v_fmac_f32_e32 v0, v72, v106
	v_fma_f32 v1, v72, v107, -v1
	v_fmac_f32_e32 v2, v74, v108
	v_fma_f32 v3, v74, v109, -v3
	ds_read2_b64 v[72:75], v16 offset0:116 offset1:179
	v_mul_f32_e32 v5, v63, v110
	s_waitcnt lgkmcnt(2)
	v_mul_f32_e32 v6, v61, v113
	v_mul_f32_e32 v7, v61, v112
	;; [unrolled: 1-line block ×4, first 2 shown]
	s_waitcnt lgkmcnt(1)
	v_mul_f32_e32 v10, v67, v117
	v_mul_f32_e32 v11, v67, v116
	v_fmac_f32_e32 v4, v62, v110
	v_fma_f32 v5, v62, v111, -v5
	v_fmac_f32_e32 v6, v60, v112
	v_fma_f32 v7, v60, v113, -v7
	;; [unrolled: 2-line block ×3, first 2 shown]
	ds_read2_b64 v[60:63], v198 offset0:106 offset1:169
	v_mul_f32_e32 v12, v51, v119
	v_mul_f32_e32 v13, v51, v118
	v_fmac_f32_e32 v10, v66, v116
	v_fma_f32 v11, v66, v117, -v11
	ds_read2_b64 v[64:67], v199 offset0:114 offset1:177
	s_waitcnt lgkmcnt(2)
	v_mul_f32_e32 v14, v49, v73
	v_mul_f32_e32 v15, v49, v72
	v_fmac_f32_e32 v12, v50, v118
	v_fma_f32 v13, v50, v119, -v13
	v_mul_f32_e32 v106, v57, v75
	v_fmac_f32_e32 v14, v48, v72
	v_fma_f32 v15, v48, v73, -v15
	ds_read2_b64 v[48:51], v204 offset0:104 offset1:167
	v_mul_f32_e32 v57, v57, v74
	v_fmac_f32_e32 v106, v56, v74
	v_fma_f32 v72, v56, v75, -v57
	s_waitcnt lgkmcnt(2)
	v_mul_f32_e32 v73, v59, v61
	v_mul_f32_e32 v56, v59, v60
	;; [unrolled: 1-line block ×4, first 2 shown]
	s_waitcnt lgkmcnt(1)
	v_mul_f32_e32 v107, v41, v65
	v_mul_f32_e32 v41, v41, v64
	v_fmac_f32_e32 v73, v58, v60
	v_fma_f32 v75, v58, v61, -v56
	v_fmac_f32_e32 v74, v42, v62
	ds_read2_b64 v[56:59], v202 offset0:112 offset1:175
	v_fmac_f32_e32 v107, v40, v64
	v_fma_f32 v62, v40, v65, -v41
	v_mul_f32_e32 v40, v53, v66
	s_waitcnt lgkmcnt(1)
	v_mul_f32_e32 v41, v55, v48
	v_fma_f32 v63, v42, v63, -v43
	v_mul_f32_e32 v108, v53, v67
	ds_read_b64 v[60:61], v254 offset:13104
	v_fma_f32 v67, v52, v67, -v40
	v_fma_f32 v110, v54, v49, -v41
	ds_read2_b64 v[40:43], v254 offset1:63
	v_mul_f32_e32 v111, v39, v51
	v_mul_f32_e32 v39, v39, v50
	v_mul_f32_e32 v109, v55, v49
	v_fmac_f32_e32 v108, v52, v66
	v_fmac_f32_e32 v111, v38, v50
	v_fma_f32 v113, v38, v51, -v39
	v_fmac_f32_e32 v109, v54, v48
	s_waitcnt lgkmcnt(2)
	v_mul_f32_e32 v112, v37, v57
	v_mul_f32_e32 v37, v37, v56
	;; [unrolled: 1-line block ×4, first 2 shown]
	v_fmac_f32_e32 v112, v36, v56
	v_fma_f32 v115, v36, v57, -v37
	s_waitcnt lgkmcnt(1)
	v_mul_f32_e32 v116, v47, v61
	v_fma_f32 v117, v44, v59, -v38
	v_add_f32_e32 v36, v0, v2
	v_mul_f32_e32 v37, v47, v60
	v_add_f32_e32 v38, v1, v3
	s_waitcnt lgkmcnt(0)
	v_add_f32_e32 v39, v40, v0
	v_fmac_f32_e32 v114, v44, v58
	v_fmac_f32_e32 v116, v46, v60
	v_fma_f32 v40, -0.5, v36, v40
	v_sub_f32_e32 v56, v1, v3
	v_add_f32_e32 v1, v41, v1
	v_fma_f32 v41, -0.5, v38, v41
	v_fma_f32 v118, v46, v61, -v37
	v_add_f32_e32 v52, v39, v2
	ds_read2_b64 v[36:39], v254 offset0:126 offset1:189
	ds_read2_b64 v[44:47], v203 offset0:124 offset1:187
	;; [unrolled: 1-line block ×3, first 2 shown]
	s_waitcnt lgkmcnt(0)
	s_barrier
	buffer_gl0_inv
	buffer_load_dword v57, off, s[20:23], 0 offset:336 ; 4-byte Folded Reload
	v_sub_f32_e32 v0, v0, v2
	v_fmamk_f32 v54, v56, 0xbf5db3d7, v40
	v_add_f32_e32 v53, v1, v3
	v_add_f32_e32 v1, v6, v4
	;; [unrolled: 1-line block ×3, first 2 shown]
	v_fmamk_f32 v55, v0, 0x3f5db3d7, v41
	v_add_f32_e32 v3, v42, v6
	v_fmac_f32_e32 v41, 0xbf5db3d7, v0
	v_fma_f32 v42, -0.5, v1, v42
	v_add_f32_e32 v1, v43, v7
	v_fmac_f32_e32 v43, -0.5, v2
	v_sub_f32_e32 v2, v6, v4
	v_add_f32_e32 v0, v8, v10
	v_fmac_f32_e32 v40, 0x3f5db3d7, v56
	v_sub_f32_e32 v7, v7, v5
	s_waitcnt vmcnt(0)
	ds_write2_b64 v57, v[52:53], v[54:55] offset1:27
	v_add_f32_e32 v52, v3, v4
	buffer_load_dword v4, off, s[20:23], 0 offset:316 ; 4-byte Folded Reload
	v_add_f32_e32 v53, v1, v5
	v_add_f32_e32 v1, v9, v11
	;; [unrolled: 1-line block ×3, first 2 shown]
	v_fma_f32 v36, -0.5, v0, v36
	v_add_f32_e32 v0, v37, v9
	v_fmamk_f32 v54, v7, 0xbf5db3d7, v42
	v_fmamk_f32 v55, v2, 0x3f5db3d7, v43
	ds_write_b64 v57, v[40:41] offset:432
	v_fmac_f32_e32 v43, 0xbf5db3d7, v2
	v_sub_f32_e32 v2, v9, v11
	v_fma_f32 v37, -0.5, v1, v37
	v_sub_f32_e32 v1, v8, v10
	v_add_f32_e32 v41, v0, v11
	v_add_f32_e32 v0, v14, v12
	v_fmac_f32_e32 v42, 0x3f5db3d7, v7
	v_add_f32_e32 v40, v3, v10
	v_sub_f32_e32 v3, v15, v13
	s_waitcnt vmcnt(0)
	ds_write2_b64 v4, v[52:53], v[54:55] offset1:27
	v_fmamk_f32 v52, v2, 0xbf5db3d7, v36
	v_fmac_f32_e32 v36, 0x3f5db3d7, v2
	v_fmamk_f32 v53, v1, 0x3f5db3d7, v37
	v_fmac_f32_e32 v37, 0xbf5db3d7, v1
	v_add_f32_e32 v1, v15, v13
	v_add_f32_e32 v2, v38, v14
	v_fma_f32 v38, -0.5, v0, v38
	v_add_f32_e32 v0, v39, v15
	ds_write_b64 v4, v[42:43] offset:432
	v_fmac_f32_e32 v39, -0.5, v1
	v_sub_f32_e32 v1, v14, v12
	v_add_f32_e32 v54, v2, v12
	v_add_f32_e32 v55, v0, v13
	;; [unrolled: 1-line block ×4, first 2 shown]
	v_fmamk_f32 v57, v1, 0x3f5db3d7, v39
	v_fmac_f32_e32 v39, 0xbf5db3d7, v1
	v_add_f32_e32 v1, v44, v106
	v_fma_f32 v42, -0.5, v0, v44
	v_sub_f32_e32 v0, v72, v75
	v_fma_f32 v43, -0.5, v2, v45
	v_sub_f32_e32 v2, v106, v73
	v_add_f32_e32 v44, v1, v73
	v_add_f32_e32 v1, v45, v72
	v_fmamk_f32 v58, v0, 0xbf5db3d7, v42
	v_fmac_f32_e32 v42, 0x3f5db3d7, v0
	v_add_f32_e32 v0, v107, v74
	v_fmamk_f32 v59, v2, 0x3f5db3d7, v43
	v_add_f32_e32 v45, v1, v75
	v_add_f32_e32 v1, v46, v107
	v_fmac_f32_e32 v43, 0xbf5db3d7, v2
	v_fma_f32 v46, -0.5, v0, v46
	v_sub_f32_e32 v0, v62, v63
	v_add_f32_e32 v2, v62, v63
	v_add_f32_e32 v60, v1, v74
	v_add_f32_e32 v1, v47, v62
	v_fmamk_f32 v56, v3, 0xbf5db3d7, v38
	v_fmamk_f32 v62, v0, 0xbf5db3d7, v46
	v_fmac_f32_e32 v46, 0x3f5db3d7, v0
	v_add_f32_e32 v0, v67, v110
	v_fmac_f32_e32 v38, 0x3f5db3d7, v3
	v_fmac_f32_e32 v47, -0.5, v2
	v_add_f32_e32 v2, v108, v109
	v_sub_f32_e32 v3, v107, v74
	v_fma_f32 v65, -0.5, v0, v49
	v_add_f32_e32 v0, v48, v108
	v_add_f32_e32 v61, v1, v63
	v_fma_f32 v64, -0.5, v2, v48
	v_fmamk_f32 v63, v3, 0x3f5db3d7, v47
	v_fmac_f32_e32 v47, 0xbf5db3d7, v3
	v_add_f32_e32 v3, v112, v111
	v_add_f32_e32 v48, v0, v109
	;; [unrolled: 1-line block ×3, first 2 shown]
	v_sub_f32_e32 v2, v67, v110
	v_add_f32_e32 v1, v49, v67
	v_fma_f32 v50, -0.5, v3, v50
	v_sub_f32_e32 v3, v115, v113
	v_add_f32_e32 v74, v0, v111
	v_add_f32_e32 v0, v114, v116
	v_fmamk_f32 v66, v2, 0xbf5db3d7, v64
	v_fmac_f32_e32 v64, 0x3f5db3d7, v2
	v_fmamk_f32 v72, v3, 0xbf5db3d7, v50
	v_fmac_f32_e32 v50, 0x3f5db3d7, v3
	v_add_f32_e32 v3, v104, v114
	v_fma_f32 v104, -0.5, v0, v104
	v_sub_f32_e32 v0, v117, v118
	v_sub_f32_e32 v2, v108, v109
	v_add_f32_e32 v49, v1, v110
	v_add_f32_e32 v1, v115, v113
	;; [unrolled: 1-line block ×3, first 2 shown]
	v_fmamk_f32 v106, v0, 0xbf5db3d7, v104
	v_fmac_f32_e32 v104, 0x3f5db3d7, v0
	buffer_load_dword v0, off, s[20:23], 0 offset:240 ; 4-byte Folded Reload
	v_fmamk_f32 v67, v2, 0x3f5db3d7, v65
	v_fmac_f32_e32 v65, 0xbf5db3d7, v2
	v_add_f32_e32 v2, v51, v115
	v_fmac_f32_e32 v51, -0.5, v1
	v_sub_f32_e32 v1, v112, v111
	s_waitcnt vmcnt(0)
	ds_write2_b64 v0, v[40:41], v[52:53] offset1:27
	ds_write_b64 v0, v[36:37] offset:432
	buffer_load_dword v0, off, s[20:23], 0 offset:244 ; 4-byte Folded Reload
	v_add_f32_e32 v75, v2, v113
	v_fmamk_f32 v73, v1, 0x3f5db3d7, v51
	v_fmac_f32_e32 v51, 0xbf5db3d7, v1
	v_add_f32_e32 v2, v117, v118
	v_add_f32_e32 v1, v105, v117
	s_waitcnt vmcnt(0)
	ds_write2_b64 v0, v[54:55], v[56:57] offset1:27
	ds_write_b64 v0, v[38:39] offset:432
	buffer_load_dword v0, off, s[20:23], 0 offset:264 ; 4-byte Folded Reload
	v_fmac_f32_e32 v105, -0.5, v2
	v_sub_f32_e32 v2, v114, v116
	v_add_f32_e32 v109, v1, v118
	s_waitcnt vmcnt(0)
	ds_write2_b64 v0, v[44:45], v[58:59] offset1:27
	ds_write_b64 v0, v[42:43] offset:432
	buffer_load_dword v0, off, s[20:23], 0 offset:268 ; 4-byte Folded Reload
	v_fmamk_f32 v107, v2, 0x3f5db3d7, v105
	v_fmac_f32_e32 v105, 0xbf5db3d7, v2
	s_waitcnt vmcnt(0)
	ds_write2_b64 v0, v[60:61], v[62:63] offset1:27
	ds_write_b64 v0, v[46:47] offset:432
	buffer_load_dword v0, off, s[20:23], 0 offset:288 ; 4-byte Folded Reload
	s_waitcnt vmcnt(0)
	ds_write2_b64 v0, v[48:49], v[66:67] offset1:27
	ds_write_b64 v0, v[64:65] offset:432
	buffer_load_dword v0, off, s[20:23], 0 offset:292 ; 4-byte Folded Reload
	;; [unrolled: 4-line block ×3, first 2 shown]
	s_waitcnt vmcnt(0)
	ds_write2_b64 v0, v[108:109], v[106:107] offset1:27
	ds_write_b64 v0, v[104:105] offset:432
	s_waitcnt lgkmcnt(0)
	s_barrier
	buffer_gl0_inv
	ds_read2_b64 v[36:39], v195 offset0:120 offset1:183
	ds_read2_b64 v[44:47], v196 offset0:110 offset1:173
	;; [unrolled: 1-line block ×3, first 2 shown]
	ds_read2_b64 v[52:55], v254 offset1:63
	ds_read2_b64 v[56:59], v254 offset0:126 offset1:189
	ds_read2_b64 v[60:63], v255 offset0:108 offset1:171
	;; [unrolled: 1-line block ×8, first 2 shown]
	s_clause 0x3
	buffer_load_dword v4, off, s[20:23], 0 offset:272
	buffer_load_dword v5, off, s[20:23], 0 offset:276
	;; [unrolled: 1-line block ×4, first 2 shown]
	ds_read2_b64 v[116:119], v202 offset0:112 offset1:175
	ds_read_b64 v[120:121], v254 offset:13104
	s_clause 0x7
	buffer_load_dword v11, off, s[20:23], 0 offset:248
	buffer_load_dword v12, off, s[20:23], 0 offset:252
	;; [unrolled: 1-line block ×8, first 2 shown]
	s_waitcnt vmcnt(10) lgkmcnt(13)
	v_mul_f32_e32 v0, v5, v39
	v_mul_f32_e32 v1, v5, v38
	s_waitcnt vmcnt(8) lgkmcnt(12)
	v_mul_f32_e32 v2, v7, v45
	v_mul_f32_e32 v3, v7, v44
	s_waitcnt vmcnt(6) lgkmcnt(11)
	v_mul_f32_e32 v5, v12, v48
	v_fmac_f32_e32 v0, v4, v38
	v_fma_f32 v1, v4, v39, -v1
	v_mul_f32_e32 v4, v12, v49
	v_fmac_f32_e32 v2, v6, v44
	v_fma_f32 v3, v6, v45, -v3
	s_waitcnt vmcnt(4)
	v_mul_f32_e32 v6, v14, v46
	v_fma_f32 v5, v11, v49, -v5
	v_fmac_f32_e32 v4, v11, v48
	s_waitcnt vmcnt(2)
	v_mul_f32_e32 v11, v123, v51
	v_mul_f32_e32 v10, v14, v47
	;; [unrolled: 1-line block ×3, first 2 shown]
	v_fma_f32 v15, v13, v47, -v6
	s_waitcnt vmcnt(0) lgkmcnt(8)
	v_mul_f32_e32 v6, v125, v60
	v_fmac_f32_e32 v11, v122, v50
	s_clause 0x7
	buffer_load_dword v47, off, s[20:23], 0 offset:296
	buffer_load_dword v48, off, s[20:23], 0 offset:300
	;; [unrolled: 1-line block ×8, first 2 shown]
	v_fma_f32 v39, v122, v51, -v7
	v_fmac_f32_e32 v10, v13, v46
	v_fma_f32 v45, v124, v61, -v6
	v_mul_f32_e32 v38, v125, v61
	v_add_f32_e32 v9, v1, v3
	v_add_f32_e32 v8, v52, v0
	v_sub_f32_e32 v13, v1, v3
	v_add_f32_e32 v1, v53, v1
	v_fmac_f32_e32 v38, v124, v60
	s_waitcnt vmcnt(0) lgkmcnt(0)
	v_add_f32_e32 v8, v8, v2
	s_barrier
	buffer_gl0_inv
	v_mul_f32_e32 v44, v48, v65
	v_mul_f32_e32 v7, v48, v64
	;; [unrolled: 1-line block ×5, first 2 shown]
	v_fmac_f32_e32 v44, v47, v64
	v_fma_f32 v47, v47, v65, -v7
	v_mul_f32_e32 v7, v21, v66
	v_fmac_f32_e32 v46, v49, v62
	v_fma_f32 v49, v49, v63, -v6
	v_mul_f32_e32 v6, v23, v104
	v_mul_f32_e32 v50, v23, v105
	v_fma_f32 v51, v20, v67, -v7
	v_mul_f32_e32 v7, v17, v108
	v_mul_f32_e32 v62, v19, v107
	v_fma_f32 v61, v22, v105, -v6
	v_mul_f32_e32 v6, v19, v106
	v_fmac_f32_e32 v48, v20, v66
	v_fma_f32 v63, v16, v109, -v7
	v_mul_f32_e32 v7, v33, v110
	v_mul_f32_e32 v60, v17, v109
	v_fma_f32 v65, v18, v107, -v6
	v_mul_f32_e32 v6, v35, v112
	v_mul_f32_e32 v64, v33, v111
	;; [unrolled: 3-line block ×3, first 2 shown]
	v_fma_f32 v105, v34, v113, -v6
	v_mul_f32_e32 v6, v31, v114
	v_fmac_f32_e32 v60, v16, v108
	v_fma_f32 v107, v28, v117, -v7
	v_mul_f32_e32 v7, v25, v118
	v_fmac_f32_e32 v66, v34, v112
	;; [unrolled: 3-line block ×3, first 2 shown]
	v_fma_f32 v111, v24, v119, -v7
	v_add_f32_e32 v7, v0, v2
	v_sub_f32_e32 v0, v0, v2
	v_fma_f32 v112, v26, v121, -v6
	v_add_f32_e32 v2, v54, v4
	v_fmac_f32_e32 v50, v22, v104
	v_fma_f32 v6, -0.5, v7, v52
	v_fma_f32 v7, -0.5, v9, v53
	v_add_f32_e32 v9, v1, v3
	v_add_f32_e32 v1, v4, v10
	;; [unrolled: 1-line block ×3, first 2 shown]
	v_fmamk_f32 v12, v13, 0xbf5db3d7, v6
	v_fmac_f32_e32 v6, 0x3f5db3d7, v13
	v_fmamk_f32 v13, v0, 0x3f5db3d7, v7
	v_fmac_f32_e32 v7, 0xbf5db3d7, v0
	ds_write2_b64 v254, v[8:9], v[12:13] offset1:81
	ds_write_b64 v254, v[6:7] offset:1296
	buffer_load_dword v6, off, s[20:23], 0 offset:340 ; 4-byte Folded Reload
	v_add_f32_e32 v0, v5, v15
	v_fma_f32 v54, -0.5, v1, v54
	v_sub_f32_e32 v1, v5, v15
	v_add_f32_e32 v2, v55, v5
	v_mul_f32_e32 v108, v25, v119
	v_fmac_f32_e32 v55, -0.5, v0
	v_sub_f32_e32 v0, v4, v10
	v_fmamk_f32 v16, v1, 0xbf5db3d7, v54
	v_add_f32_e32 v15, v2, v15
	v_fmac_f32_e32 v54, 0x3f5db3d7, v1
	v_add_f32_e32 v1, v11, v38
	v_fmamk_f32 v17, v0, 0x3f5db3d7, v55
	v_fmac_f32_e32 v55, 0xbf5db3d7, v0
	v_add_f32_e32 v2, v56, v11
	v_add_f32_e32 v0, v39, v45
	v_fma_f32 v18, -0.5, v1, v56
	v_sub_f32_e32 v1, v39, v45
	v_fmac_f32_e32 v64, v32, v110
	v_add_f32_e32 v20, v2, v38
	v_add_f32_e32 v2, v57, v39
	v_fma_f32 v19, -0.5, v0, v57
	v_sub_f32_e32 v0, v11, v38
	v_fmamk_f32 v22, v1, 0xbf5db3d7, v18
	v_fmac_f32_e32 v18, 0x3f5db3d7, v1
	v_add_f32_e32 v21, v2, v45
	v_add_f32_e32 v1, v44, v46
	v_fmamk_f32 v23, v0, 0x3f5db3d7, v19
	v_fmac_f32_e32 v19, 0xbf5db3d7, v0
	v_add_f32_e32 v2, v58, v44
	v_add_f32_e32 v0, v47, v49
	v_mul_f32_e32 v110, v27, v121
	v_fmac_f32_e32 v108, v24, v118
	v_fma_f32 v58, -0.5, v1, v58
	v_sub_f32_e32 v1, v47, v49
	v_add_f32_e32 v24, v2, v46
	v_add_f32_e32 v2, v59, v47
	v_fmac_f32_e32 v59, -0.5, v0
	v_sub_f32_e32 v0, v44, v46
	v_mul_f32_e32 v104, v29, v117
	v_mul_f32_e32 v106, v31, v115
	v_fmac_f32_e32 v110, v26, v120
	v_fmamk_f32 v26, v1, 0xbf5db3d7, v58
	v_fmac_f32_e32 v58, 0x3f5db3d7, v1
	v_add_f32_e32 v25, v2, v49
	v_add_f32_e32 v1, v48, v50
	v_fmamk_f32 v27, v0, 0x3f5db3d7, v59
	v_add_f32_e32 v2, v72, v48
	v_fmac_f32_e32 v59, 0xbf5db3d7, v0
	v_add_f32_e32 v0, v51, v61
	v_fmac_f32_e32 v104, v28, v116
	v_fmac_f32_e32 v106, v30, v114
	v_fma_f32 v28, -0.5, v1, v72
	v_sub_f32_e32 v1, v51, v61
	v_add_f32_e32 v30, v2, v50
	v_add_f32_e32 v2, v73, v51
	v_fma_f32 v29, -0.5, v0, v73
	v_sub_f32_e32 v0, v48, v50
	v_fmamk_f32 v32, v1, 0xbf5db3d7, v28
	v_fmac_f32_e32 v28, 0x3f5db3d7, v1
	v_add_f32_e32 v31, v2, v61
	v_add_f32_e32 v1, v60, v62
	v_fmamk_f32 v33, v0, 0x3f5db3d7, v29
	v_fmac_f32_e32 v29, 0xbf5db3d7, v0
	v_add_f32_e32 v2, v74, v60
	v_add_f32_e32 v0, v63, v65
	v_fma_f32 v74, -0.5, v1, v74
	v_sub_f32_e32 v1, v63, v65
	s_waitcnt vmcnt(0)
	ds_write2_b64 v6, v[14:15], v[16:17] offset1:81
	ds_write_b64 v6, v[54:55] offset:1296
	s_clause 0x1
	buffer_load_dword v8, off, s[20:23], 0 offset:352
	buffer_load_dword v7, off, s[20:23], 0 offset:344
	v_add_f32_e32 v34, v2, v62
	v_add_f32_e32 v2, v75, v63
	v_fmac_f32_e32 v75, -0.5, v0
	v_sub_f32_e32 v0, v60, v62
	v_fmamk_f32 v38, v1, 0xbf5db3d7, v74
	v_fmac_f32_e32 v74, 0x3f5db3d7, v1
	v_add_f32_e32 v35, v2, v65
	v_add_f32_e32 v1, v64, v66
	v_fmamk_f32 v39, v0, 0x3f5db3d7, v75
	v_fmac_f32_e32 v75, 0xbf5db3d7, v0
	v_add_f32_e32 v2, v40, v64
	v_add_f32_e32 v0, v67, v105
	v_fma_f32 v40, -0.5, v1, v40
	v_sub_f32_e32 v1, v67, v105
	v_add_f32_e32 v3, v107, v109
	v_add_f32_e32 v44, v2, v66
	;; [unrolled: 1-line block ×3, first 2 shown]
	v_fma_f32 v41, -0.5, v0, v41
	v_sub_f32_e32 v0, v64, v66
	v_fmamk_f32 v46, v1, 0xbf5db3d7, v40
	v_fmac_f32_e32 v40, 0x3f5db3d7, v1
	v_add_f32_e32 v45, v2, v105
	v_add_f32_e32 v1, v104, v106
	v_fmamk_f32 v47, v0, 0x3f5db3d7, v41
	v_fmac_f32_e32 v41, 0xbf5db3d7, v0
	v_add_f32_e32 v2, v42, v104
	v_add_f32_e32 v4, v43, v107
	v_fma_f32 v42, -0.5, v1, v42
	v_sub_f32_e32 v1, v107, v109
	v_fmac_f32_e32 v43, -0.5, v3
	v_sub_f32_e32 v5, v104, v106
	v_add_f32_e32 v0, v2, v106
	v_add_f32_e32 v10, v36, v108
	v_fmamk_f32 v2, v1, 0xbf5db3d7, v42
	v_fmac_f32_e32 v42, 0x3f5db3d7, v1
	v_add_f32_e32 v1, v4, v109
	v_add_f32_e32 v4, v108, v110
	v_fmamk_f32 v3, v5, 0x3f5db3d7, v43
	v_fmac_f32_e32 v43, 0xbf5db3d7, v5
	v_add_f32_e32 v5, v111, v112
	v_sub_f32_e32 v11, v111, v112
	v_fma_f32 v36, -0.5, v4, v36
	v_add_f32_e32 v48, v37, v111
	v_sub_f32_e32 v49, v108, v110
	v_fmac_f32_e32 v37, -0.5, v5
	v_add_f32_e32 v10, v10, v110
	v_fmamk_f32 v4, v11, 0xbf5db3d7, v36
	v_fmac_f32_e32 v36, 0x3f5db3d7, v11
	v_add_f32_e32 v11, v48, v112
	v_fmamk_f32 v5, v49, 0x3f5db3d7, v37
	v_fmac_f32_e32 v37, 0xbf5db3d7, v49
	s_waitcnt vmcnt(0)
	ds_write2_b64 v7, v[20:21], v[22:23] offset1:81
	ds_write_b64 v7, v[18:19] offset:1296
	buffer_load_dword v7, off, s[20:23], 0 offset:348 ; 4-byte Folded Reload
	v_add_nc_u32_e32 v6, 0x1400, v8
	s_waitcnt vmcnt(0)
	ds_write2_b64 v7, v[24:25], v[26:27] offset1:81
	ds_write_b64 v7, v[58:59] offset:1296
	ds_write2_b64 v6, v[30:31], v[32:33] offset0:89 offset1:170
	ds_write_b64 v8, v[28:29] offset:7128
	buffer_load_dword v6, off, s[20:23], 0 offset:356 ; 4-byte Folded Reload
	s_waitcnt vmcnt(0)
	ds_write2_b64 v6, v[34:35], v[38:39] offset1:81
	ds_write_b64 v6, v[74:75] offset:1296
	s_clause 0x1
	buffer_load_dword v8, off, s[20:23], 0 offset:364
	buffer_load_dword v7, off, s[20:23], 0 offset:360
	s_waitcnt vmcnt(0)
	ds_write2_b64 v7, v[44:45], v[46:47] offset1:81
	ds_write_b64 v7, v[40:41] offset:1296
	buffer_load_dword v7, off, s[20:23], 0 offset:368 ; 4-byte Folded Reload
	v_add_nc_u32_e32 v6, 0x2c00, v8
	s_waitcnt vmcnt(0)
	ds_write2_b64 v7, v[0:1], v[2:3] offset1:81
	ds_write_b64 v7, v[42:43] offset:1296
	ds_write2_b64 v6, v[10:11], v[4:5] offset0:50 offset1:131
	ds_write_b64 v8, v[36:37] offset:12960
	s_waitcnt lgkmcnt(0)
	s_barrier
	buffer_gl0_inv
	ds_read2_b64 v[16:19], v254 offset1:63
	ds_read2_b64 v[12:15], v254 offset0:126 offset1:243
	ds_read2_b64 v[52:55], v195 offset0:102 offset1:165
	;; [unrolled: 1-line block ×9, first 2 shown]
	ds_read_b64 v[56:57], v254 offset:12672
	s_and_saveexec_b32 s0, vcc_lo
	s_cbranch_execz .LBB0_7
; %bb.6:
	v_add_nc_u32_e32 v0, 0x1500, v254
	ds_read2_b64 v[4:7], v255 offset0:9 offset1:252
	ds_read2_b64 v[8:11], v0 offset0:3 offset1:246
	ds_read_b64 v[1:2], v254 offset:13176
	v_add_nc_u32_e32 v0, 0x5c0, v254
	s_waitcnt lgkmcnt(0)
	buffer_store_dword v1, off, s[20:23], 0 offset:4 ; 4-byte Folded Spill
	buffer_store_dword v2, off, s[20:23], 0 offset:8 ; 4-byte Folded Spill
	ds_read2_b64 v[0:3], v0 offset0:5 offset1:248
	v_mov_b32_e32 v36, v6
	v_mov_b32_e32 v37, v7
	;; [unrolled: 1-line block ×4, first 2 shown]
.LBB0_7:
	s_or_b32 exec_lo, exec_lo, s0
	s_waitcnt lgkmcnt(9)
	v_mul_f32_e32 v6, v69, v15
	v_mul_f32_e32 v7, v69, v14
	s_waitcnt lgkmcnt(8)
	v_mul_f32_e32 v8, v71, v53
	v_mul_f32_e32 v9, v71, v52
	s_waitcnt lgkmcnt(7)
	v_mul_f32_e32 v58, v101, v27
	v_fmac_f32_e32 v6, v68, v14
	v_mul_f32_e32 v14, v101, v26
	v_fma_f32 v7, v68, v15, -v7
	v_fmac_f32_e32 v8, v70, v52
	v_fma_f32 v9, v70, v53, -v9
	v_fmac_f32_e32 v58, v100, v26
	v_fma_f32 v14, v100, v27, -v14
	s_waitcnt lgkmcnt(6)
	v_mul_f32_e32 v15, v103, v49
	v_mul_f32_e32 v26, v103, v48
	s_waitcnt lgkmcnt(5)
	v_mul_f32_e32 v27, v97, v23
	v_mul_f32_e32 v52, v97, v22
	s_waitcnt lgkmcnt(4)
	v_mul_f32_e32 v53, v99, v39
	v_fmac_f32_e32 v15, v102, v48
	v_fma_f32 v26, v102, v49, -v26
	v_fmac_f32_e32 v27, v96, v22
	v_fma_f32 v22, v96, v23, -v52
	v_fmac_f32_e32 v53, v98, v38
	v_mul_f32_e32 v23, v99, v38
	s_waitcnt lgkmcnt(3)
	v_mul_f32_e32 v38, v93, v45
	v_mul_f32_e32 v48, v93, v44
	;; [unrolled: 1-line block ×4, first 2 shown]
	v_fma_f32 v23, v98, v39, -v23
	v_fmac_f32_e32 v38, v92, v44
	v_fma_f32 v39, v92, v45, -v48
	v_fmac_f32_e32 v49, v94, v54
	v_fma_f32 v44, v94, v55, -v52
	s_waitcnt lgkmcnt(2)
	v_mul_f32_e32 v45, v89, v33
	v_mul_f32_e32 v48, v89, v32
	v_mul_f32_e32 v52, v91, v51
	v_mul_f32_e32 v54, v91, v50
	s_waitcnt lgkmcnt(1)
	v_mul_f32_e32 v55, v81, v29
	v_fmac_f32_e32 v45, v88, v32
	v_fma_f32 v32, v88, v33, -v48
	v_fmac_f32_e32 v52, v90, v50
	v_fma_f32 v33, v90, v51, -v54
	v_fmac_f32_e32 v55, v80, v28
	v_mul_f32_e32 v28, v81, v28
	v_mul_f32_e32 v48, v83, v41
	;; [unrolled: 1-line block ×5, first 2 shown]
	v_fma_f32 v28, v80, v29, -v28
	v_fmac_f32_e32 v48, v82, v40
	v_fma_f32 v29, v82, v41, -v50
	v_fma_f32 v40, v76, v47, -v54
	v_mul_f32_e32 v41, v79, v25
	v_mul_f32_e32 v54, v87, v21
	v_fmac_f32_e32 v51, v76, v46
	v_mul_f32_e32 v46, v79, v24
	s_waitcnt lgkmcnt(0)
	v_mul_f32_e32 v60, v191, v57
	v_fmac_f32_e32 v41, v78, v24
	v_fmac_f32_e32 v54, v86, v20
	v_mul_f32_e32 v20, v87, v20
	v_mul_f32_e32 v24, v189, v30
	v_fma_f32 v46, v78, v25, -v46
	v_mul_f32_e32 v25, v191, v56
	v_mul_f32_e32 v47, v85, v35
	v_fma_f32 v61, v86, v21, -v20
	v_fma_f32 v62, v188, v31, -v24
	v_add_f32_e32 v20, v6, v53
	v_add_f32_e32 v21, v7, v23
	v_sub_f32_e32 v7, v7, v23
	v_add_f32_e32 v23, v8, v27
	v_add_f32_e32 v24, v9, v22
	v_mul_f32_e32 v50, v85, v34
	v_mul_f32_e32 v59, v189, v31
	v_fmac_f32_e32 v60, v190, v56
	v_fma_f32 v56, v190, v57, -v25
	v_sub_f32_e32 v8, v8, v27
	v_sub_f32_e32 v9, v9, v22
	v_add_f32_e32 v22, v58, v15
	v_add_f32_e32 v25, v14, v26
	v_sub_f32_e32 v15, v15, v58
	v_sub_f32_e32 v14, v26, v14
	v_add_f32_e32 v26, v23, v20
	v_add_f32_e32 v27, v24, v21
	v_fmac_f32_e32 v47, v84, v34
	v_fma_f32 v50, v84, v35, -v50
	v_fmac_f32_e32 v59, v188, v30
	v_sub_f32_e32 v6, v6, v53
	v_sub_f32_e32 v30, v23, v20
	;; [unrolled: 1-line block ×7, first 2 shown]
	v_add_f32_e32 v34, v15, v8
	v_add_f32_e32 v35, v14, v9
	v_sub_f32_e32 v53, v15, v8
	v_sub_f32_e32 v57, v14, v9
	v_add_f32_e32 v22, v22, v26
	v_add_f32_e32 v25, v25, v27
	v_sub_f32_e32 v15, v6, v15
	v_sub_f32_e32 v14, v7, v14
	;; [unrolled: 1-line block ×4, first 2 shown]
	v_add_f32_e32 v26, v34, v6
	v_add_f32_e32 v27, v35, v7
	;; [unrolled: 1-line block ×4, first 2 shown]
	v_mul_f32_e32 v16, 0x3f4a47b2, v20
	v_mul_f32_e32 v17, 0x3f4a47b2, v21
	;; [unrolled: 1-line block ×8, first 2 shown]
	v_fmamk_f32 v22, v22, 0xbf955555, v6
	v_fmamk_f32 v25, v25, 0xbf955555, v7
	;; [unrolled: 1-line block ×4, first 2 shown]
	v_fma_f32 v20, 0x3f3bfb3b, v30, -v20
	v_fma_f32 v21, 0x3f3bfb3b, v31, -v21
	;; [unrolled: 1-line block ×4, first 2 shown]
	v_fmamk_f32 v30, v15, 0xbeae86e6, v34
	v_fmamk_f32 v31, v14, 0xbeae86e6, v35
	v_fma_f32 v34, 0xbf5ff5aa, v8, -v34
	v_fma_f32 v35, 0xbf5ff5aa, v9, -v35
	;; [unrolled: 1-line block ×4, first 2 shown]
	v_add_f32_e32 v58, v23, v22
	v_add_f32_e32 v21, v21, v25
	v_fmac_f32_e32 v31, 0xbee1c552, v27
	v_fmac_f32_e32 v34, 0xbee1c552, v26
	v_add_f32_e32 v63, v24, v25
	v_add_f32_e32 v20, v20, v22
	v_add_f32_e32 v23, v17, v25
	v_fmac_f32_e32 v30, 0xbee1c552, v26
	v_fmac_f32_e32 v57, 0xbee1c552, v27
	;; [unrolled: 1-line block ×4, first 2 shown]
	v_add_f32_e32 v8, v31, v58
	v_add_f32_e32 v17, v34, v21
	v_sub_f32_e32 v21, v21, v34
	v_sub_f32_e32 v24, v58, v31
	v_add_f32_e32 v26, v38, v48
	v_add_f32_e32 v27, v39, v29
	;; [unrolled: 1-line block ×5, first 2 shown]
	v_sub_f32_e32 v9, v63, v30
	v_sub_f32_e32 v16, v20, v35
	v_add_f32_e32 v20, v35, v20
	v_add_f32_e32 v25, v30, v63
	v_sub_f32_e32 v30, v38, v48
	v_sub_f32_e32 v29, v39, v29
	;; [unrolled: 1-line block ×4, first 2 shown]
	v_add_f32_e32 v38, v45, v52
	v_add_f32_e32 v39, v32, v33
	v_sub_f32_e32 v44, v52, v45
	v_sub_f32_e32 v32, v33, v32
	v_add_f32_e32 v33, v31, v26
	v_add_f32_e32 v45, v34, v27
	;; [unrolled: 1-line block ×3, first 2 shown]
	v_sub_f32_e32 v15, v23, v53
	v_sub_f32_e32 v22, v22, v57
	v_add_f32_e32 v23, v53, v23
	v_sub_f32_e32 v48, v31, v26
	v_sub_f32_e32 v49, v34, v27
	;; [unrolled: 1-line block ×6, first 2 shown]
	v_add_f32_e32 v52, v44, v35
	v_add_f32_e32 v53, v32, v28
	v_sub_f32_e32 v55, v44, v35
	v_sub_f32_e32 v57, v32, v28
	;; [unrolled: 1-line block ×3, first 2 shown]
	v_add_f32_e32 v33, v38, v33
	v_add_f32_e32 v38, v39, v45
	v_sub_f32_e32 v28, v28, v29
	v_sub_f32_e32 v44, v30, v44
	v_sub_f32_e32 v32, v29, v32
	v_add_f32_e32 v30, v52, v30
	v_add_f32_e32 v29, v53, v29
	;; [unrolled: 1-line block ×4, first 2 shown]
	v_mul_f32_e32 v26, 0x3f4a47b2, v26
	v_mul_f32_e32 v27, 0x3f4a47b2, v27
	;; [unrolled: 1-line block ×8, first 2 shown]
	v_fmamk_f32 v33, v33, 0xbf955555, v18
	v_fmamk_f32 v38, v38, 0xbf955555, v19
	;; [unrolled: 1-line block ×4, first 2 shown]
	v_fma_f32 v39, 0x3f3bfb3b, v48, -v39
	v_fma_f32 v45, 0x3f3bfb3b, v49, -v45
	;; [unrolled: 1-line block ×4, first 2 shown]
	v_fmamk_f32 v48, v44, 0xbeae86e6, v52
	v_fmamk_f32 v49, v32, 0xbeae86e6, v53
	v_fma_f32 v35, 0xbf5ff5aa, v35, -v52
	v_fma_f32 v52, 0xbf5ff5aa, v28, -v53
	;; [unrolled: 1-line block ×4, first 2 shown]
	v_add_f32_e32 v55, v31, v33
	v_add_f32_e32 v57, v34, v38
	v_add_f32_e32 v32, v39, v33
	v_add_f32_e32 v34, v45, v38
	v_add_f32_e32 v39, v26, v33
	v_add_f32_e32 v38, v27, v38
	v_fmac_f32_e32 v48, 0xbee1c552, v30
	v_fmac_f32_e32 v49, 0xbee1c552, v29
	;; [unrolled: 1-line block ×6, first 2 shown]
	v_add_f32_e32 v26, v49, v55
	v_sub_f32_e32 v27, v57, v48
	v_add_f32_e32 v28, v53, v39
	v_sub_f32_e32 v29, v38, v44
	v_add_f32_e32 v31, v35, v34
	v_sub_f32_e32 v33, v34, v35
	v_sub_f32_e32 v34, v39, v53
	v_add_f32_e32 v35, v44, v38
	v_sub_f32_e32 v38, v55, v49
	v_add_f32_e32 v39, v48, v57
	v_add_f32_e32 v44, v51, v60
	;; [unrolled: 1-line block ×3, first 2 shown]
	v_sub_f32_e32 v48, v51, v60
	v_add_f32_e32 v49, v41, v59
	v_add_f32_e32 v51, v46, v62
	v_sub_f32_e32 v30, v32, v52
	v_add_f32_e32 v32, v52, v32
	v_sub_f32_e32 v40, v40, v56
	v_sub_f32_e32 v41, v41, v59
	;; [unrolled: 1-line block ×3, first 2 shown]
	v_add_f32_e32 v52, v47, v54
	v_add_f32_e32 v53, v50, v61
	v_sub_f32_e32 v47, v54, v47
	v_sub_f32_e32 v50, v61, v50
	v_add_f32_e32 v54, v49, v44
	v_add_f32_e32 v55, v51, v45
	v_sub_f32_e32 v56, v49, v44
	v_sub_f32_e32 v57, v51, v45
	;; [unrolled: 1-line block ×6, first 2 shown]
	v_add_f32_e32 v58, v47, v41
	v_add_f32_e32 v59, v50, v46
	v_sub_f32_e32 v60, v47, v41
	v_sub_f32_e32 v61, v50, v46
	;; [unrolled: 1-line block ×3, first 2 shown]
	v_add_f32_e32 v52, v52, v54
	v_add_f32_e32 v53, v53, v55
	v_sub_f32_e32 v46, v46, v40
	v_sub_f32_e32 v47, v48, v47
	;; [unrolled: 1-line block ×3, first 2 shown]
	v_add_f32_e32 v48, v58, v48
	v_add_f32_e32 v40, v59, v40
	;; [unrolled: 1-line block ×4, first 2 shown]
	v_mul_f32_e32 v44, 0x3f4a47b2, v44
	v_mul_f32_e32 v45, 0x3f4a47b2, v45
	;; [unrolled: 1-line block ×8, first 2 shown]
	v_fmamk_f32 v52, v52, 0xbf955555, v12
	v_fmamk_f32 v53, v53, 0xbf955555, v13
	;; [unrolled: 1-line block ×4, first 2 shown]
	v_fma_f32 v54, 0x3f3bfb3b, v56, -v54
	v_fma_f32 v55, 0x3f3bfb3b, v57, -v55
	;; [unrolled: 1-line block ×4, first 2 shown]
	v_fmamk_f32 v56, v47, 0xbeae86e6, v58
	v_fmamk_f32 v57, v50, 0xbeae86e6, v59
	v_fma_f32 v58, 0xbf5ff5aa, v41, -v58
	v_fma_f32 v59, 0xbf5ff5aa, v46, -v59
	;; [unrolled: 1-line block ×4, first 2 shown]
	v_add_f32_e32 v61, v49, v52
	v_add_f32_e32 v62, v51, v53
	;; [unrolled: 1-line block ×6, first 2 shown]
	v_fmac_f32_e32 v56, 0xbee1c552, v48
	v_fmac_f32_e32 v57, 0xbee1c552, v40
	;; [unrolled: 1-line block ×6, first 2 shown]
	v_add_f32_e32 v40, v57, v61
	v_sub_f32_e32 v41, v62, v56
	v_add_f32_e32 v44, v50, v52
	v_sub_f32_e32 v45, v53, v60
	v_sub_f32_e32 v46, v49, v59
	v_add_f32_e32 v47, v58, v51
	v_add_f32_e32 v48, v59, v49
	v_sub_f32_e32 v49, v51, v58
	v_sub_f32_e32 v50, v52, v50
	v_add_f32_e32 v51, v60, v53
	v_sub_f32_e32 v52, v61, v57
	v_add_f32_e32 v53, v56, v62
	ds_write_b64 v254, v[8:9] offset:1944
	ds_write_b64 v254, v[14:15] offset:3888
	;; [unrolled: 1-line block ×6, first 2 shown]
	ds_write2_b64 v254, v[6:7], v[18:19] offset1:63
	ds_write_b64 v254, v[28:29] offset:4392
	ds_write_b64 v254, v[30:31] offset:6336
	;; [unrolled: 1-line block ×6, first 2 shown]
	ds_write2_b64 v194, v[26:27], v[40:41] offset0:50 offset1:113
	ds_write_b64 v254, v[44:45] offset:4896
	ds_write_b64 v254, v[46:47] offset:6840
	;; [unrolled: 1-line block ×5, first 2 shown]
	s_and_saveexec_b32 s0, vcc_lo
	s_cbranch_execz .LBB0_9
; %bb.8:
	s_clause 0xd
	buffer_load_dword v22, off, s[20:23], 0 offset:492
	buffer_load_dword v23, off, s[20:23], 0 offset:496
	;; [unrolled: 1-line block ×14, first 2 shown]
	s_waitcnt vmcnt(12)
	v_mul_f32_e32 v6, v23, v3
	s_waitcnt vmcnt(6)
	v_mul_f32_e32 v7, v29, v5
	v_mul_f32_e32 v8, v27, v11
	;; [unrolled: 1-line block ×3, first 2 shown]
	s_waitcnt vmcnt(4)
	v_mul_f32_e32 v12, v31, v37
	s_waitcnt vmcnt(0)
	v_mul_f32_e32 v13, v33, v19
	v_fmac_f32_e32 v7, v28, v4
	v_fmac_f32_e32 v8, v26, v10
	;; [unrolled: 1-line block ×6, first 2 shown]
	v_mul_f32_e32 v2, v23, v2
	v_sub_f32_e32 v14, v7, v8
	v_sub_f32_e32 v15, v9, v12
	v_mul_f32_e32 v16, v33, v18
	v_sub_f32_e32 v17, v6, v13
	v_fma_f32 v2, v22, v3, -v2
	v_mul_f32_e32 v3, v27, v10
	v_mul_f32_e32 v4, v29, v4
	;; [unrolled: 1-line block ×4, first 2 shown]
	v_sub_f32_e32 v18, v14, v15
	v_fma_f32 v16, v32, v19, -v16
	v_sub_f32_e32 v19, v17, v14
	v_add_f32_e32 v14, v14, v15
	v_fma_f32 v3, v26, v11, -v3
	v_fma_f32 v4, v28, v5, -v4
	v_fma_f32 v10, v30, v37, -v20
	v_fma_f32 v20, v24, v43, -v21
	v_add_f32_e32 v21, v16, v2
	v_add_f32_e32 v11, v14, v17
	;; [unrolled: 1-line block ×7, first 2 shown]
	v_sub_f32_e32 v24, v21, v14
	v_sub_f32_e32 v4, v4, v3
	v_add_f32_e32 v23, v5, v21
	v_add_f32_e32 v8, v9, v6
	v_sub_f32_e32 v10, v20, v10
	v_mul_f32_e32 v13, 0x3f4a47b2, v24
	v_sub_f32_e32 v24, v6, v7
	v_sub_f32_e32 v2, v2, v16
	v_sub_f32_e32 v15, v15, v17
	v_add_f32_e32 v23, v14, v23
	v_sub_f32_e32 v12, v14, v5
	v_add_f32_e32 v8, v7, v8
	v_sub_f32_e32 v3, v4, v10
	v_mul_f32_e32 v18, 0x3f08b237, v18
	v_mul_f32_e32 v20, 0x3f4a47b2, v24
	v_sub_f32_e32 v7, v7, v9
	v_mul_f32_e32 v26, 0xbf5ff5aa, v15
	v_sub_f32_e32 v6, v9, v6
	v_sub_f32_e32 v9, v10, v2
	v_add_f32_e32 v1, v1, v23
	v_mul_f32_e32 v14, 0x3d64c772, v12
	v_add_f32_e32 v0, v0, v8
	v_sub_f32_e32 v24, v2, v4
	v_mul_f32_e32 v25, 0x3f08b237, v3
	v_sub_f32_e32 v5, v5, v21
	v_add_f32_e32 v4, v4, v10
	v_fmamk_f32 v22, v19, 0xbeae86e6, v18
	v_fmamk_f32 v16, v7, 0x3d64c772, v20
	v_mul_f32_e32 v7, 0x3d64c772, v7
	v_fma_f32 v10, 0x3eae86e6, v19, -v26
	v_fma_f32 v19, 0xbf3bfb3b, v6, -v20
	v_mul_f32_e32 v20, 0xbf5ff5aa, v9
	v_fmamk_f32 v12, v12, 0x3d64c772, v13
	v_fmamk_f32 v23, v23, 0xbf955555, v1
	;; [unrolled: 1-line block ×4, first 2 shown]
	v_fma_f32 v13, 0xbf3bfb3b, v5, -v13
	v_add_f32_e32 v2, v4, v2
	v_fma_f32 v4, 0x3f3bfb3b, v5, -v14
	v_fma_f32 v14, 0xbf5ff5aa, v15, -v18
	;; [unrolled: 1-line block ×5, first 2 shown]
	v_fmac_f32_e32 v22, 0xbee1c552, v11
	v_add_f32_e32 v12, v12, v23
	v_add_f32_e32 v16, v16, v8
	v_fmac_f32_e32 v10, 0xbee1c552, v11
	v_add_f32_e32 v13, v13, v23
	v_add_f32_e32 v9, v4, v23
	v_fmac_f32_e32 v14, 0xbee1c552, v11
	v_fmac_f32_e32 v17, 0xbee1c552, v2
	v_add_f32_e32 v19, v19, v8
	v_fmac_f32_e32 v20, 0xbee1c552, v2
	v_fmac_f32_e32 v15, 0xbee1c552, v2
	v_add_f32_e32 v8, v5, v8
	v_add_f32_e32 v3, v22, v12
	;; [unrolled: 1-line block ×3, first 2 shown]
	v_sub_f32_e32 v7, v9, v14
	v_add_f32_e32 v9, v14, v9
	v_sub_f32_e32 v11, v13, v10
	v_sub_f32_e32 v13, v12, v22
	v_add_f32_e32 v12, v17, v16
	v_add_nc_u32_e32 v14, 0x5c0, v254
	v_add_f32_e32 v6, v15, v8
	v_sub_f32_e32 v8, v8, v15
	v_add_f32_e32 v10, v20, v19
	v_add_nc_u32_e32 v15, 0x1500, v254
	v_sub_f32_e32 v4, v19, v20
	v_add_nc_u32_e32 v18, 0x2400, v254
	v_sub_f32_e32 v2, v16, v17
	ds_write2_b64 v14, v[0:1], v[12:13] offset0:5 offset1:248
	ds_write2_b64 v15, v[10:11], v[8:9] offset0:3 offset1:246
	;; [unrolled: 1-line block ×3, first 2 shown]
	ds_write_b64 v254, v[2:3] offset:13176
.LBB0_9:
	s_or_b32 exec_lo, exec_lo, s0
	v_add_nc_u32_e32 v0, 0xc00, v254
	s_waitcnt lgkmcnt(0)
	s_waitcnt_vscnt null, 0x0
	s_barrier
	buffer_gl0_inv
	ds_read2_b64 v[4:7], v254 offset1:63
	ds_read2_b64 v[0:3], v0 offset0:120 offset1:183
	s_clause 0x1
	buffer_load_dword v9, off, s[20:23], 0 offset:12
	buffer_load_dword v10, off, s[20:23], 0 offset:16
	v_add_nc_u32_e32 v8, 0x2000, v254
	v_add_nc_u32_e32 v16, 0x1000, v254
	buffer_load_dword v32, off, s[20:23], 0 ; 4-byte Folded Reload
	s_mov_b32 s0, 0x9c850ab
	s_mov_b32 s1, 0x3f434393
	s_mul_i32 s5, s9, 0x11b8
	s_mul_hi_u32 s6, s8, 0x11b8
	s_mul_i32 s4, s8, 0x11b8
	s_add_i32 s5, s6, s5
	s_waitcnt vmcnt(2)
	v_mov_b32_e32 v28, v9
	s_waitcnt vmcnt(1)
	ds_read2_b64 v[8:11], v8 offset0:110 offset1:173
	ds_read2_b64 v[12:15], v254 offset0:126 offset1:189
	ds_read2_b64 v[16:19], v16 offset0:118 offset1:181
	s_clause 0x1
	buffer_load_dword v29, off, s[20:23], 0 offset:20
	buffer_load_dword v30, off, s[20:23], 0 offset:24
	s_waitcnt vmcnt(2)
	v_mad_u64_u32 v[22:23], null, s8, v32, 0
	v_mad_u64_u32 v[20:21], null, s10, v28, 0
	s_waitcnt vmcnt(0) lgkmcnt(4)
	v_mul_f32_e32 v24, v30, v5
	v_mul_f32_e32 v25, v30, v4
	s_clause 0xb
	buffer_load_dword v30, off, s[20:23], 0 offset:228
	buffer_load_dword v31, off, s[20:23], 0 offset:232
	;; [unrolled: 1-line block ×12, first 2 shown]
	v_fmac_f32_e32 v24, v29, v4
	v_fma_f32 v4, v29, v5, -v25
	v_mad_u64_u32 v[28:29], null, s11, v28, v[21:22]
	v_cvt_f64_f32_e32 v[4:5], v4
	v_mul_f64 v[4:5], v[4:5], s[0:1]
	s_waitcnt vmcnt(10) lgkmcnt(3)
	v_mul_f32_e32 v26, v31, v3
	v_mul_f32_e32 v27, v31, v2
	s_waitcnt vmcnt(8) lgkmcnt(2)
	v_mul_f32_e32 v31, v34, v8
	v_fmac_f32_e32 v26, v30, v2
	v_fma_f32 v27, v30, v3, -v27
	v_cvt_f64_f32_e32 v[2:3], v24
	v_mul_f32_e32 v30, v34, v9
	v_fma_f32 v21, v33, v9, -v31
	v_cvt_f64_f32_e32 v[24:25], v26
	v_cvt_f64_f32_e32 v[26:27], v27
	s_waitcnt vmcnt(0)
	v_mul_f32_e32 v38, v42, v10
	v_fmac_f32_e32 v30, v33, v8
	v_mul_f32_e32 v33, v36, v7
	v_mul_f32_e32 v37, v42, v11
	s_waitcnt lgkmcnt(1)
	v_mul_f32_e32 v34, v40, v13
	v_cvt_f64_f32_e32 v[29:30], v30
	v_fmac_f32_e32 v33, v35, v6
	v_fmac_f32_e32 v37, v41, v10
	;; [unrolled: 1-line block ×3, first 2 shown]
	v_mul_f64 v[2:3], v[2:3], s[0:1]
	v_mad_u64_u32 v[8:9], null, s9, v32, v[23:24]
	v_mul_f32_e32 v9, v36, v6
	v_cvt_f64_f32_e32 v[31:32], v21
	v_mov_b32_e32 v21, v28
	s_waitcnt lgkmcnt(0)
	v_mul_f32_e32 v36, v44, v16
	v_fma_f32 v28, v35, v7, -v9
	v_mov_b32_e32 v23, v8
	v_mul_f64 v[6:7], v[24:25], s[0:1]
	v_mul_f64 v[8:9], v[26:27], s[0:1]
	v_mul_f32_e32 v35, v44, v17
	v_lshlrev_b64 v[20:21], 3, v[20:21]
	v_cvt_f64_f32_e32 v[24:25], v33
	v_cvt_f64_f32_e32 v[26:27], v28
	v_fma_f32 v33, v43, v17, -v36
	v_fmac_f32_e32 v35, v43, v16
	v_mul_f64 v[16:17], v[29:30], s[0:1]
	v_lshlrev_b64 v[22:23], 3, v[22:23]
	v_cvt_f32_f64_e32 v2, v[2:3]
	v_cvt_f32_f64_e32 v3, v[4:5]
	v_mul_f64 v[28:29], v[31:32], s[0:1]
	v_add_co_u32 v32, vcc_lo, s2, v20
	v_add_co_ci_u32_e32 v36, vcc_lo, s3, v21, vcc_lo
	v_cvt_f64_f32_e32 v[20:21], v35
	v_cvt_f32_f64_e32 v4, v[6:7]
	v_cvt_f32_f64_e32 v5, v[8:9]
	v_add_co_u32 v6, vcc_lo, v32, v22
	v_add_co_ci_u32_e32 v7, vcc_lo, v36, v23, vcc_lo
	v_fma_f32 v32, v41, v11, -v38
	v_add_co_u32 v8, vcc_lo, v6, s4
	v_add_co_ci_u32_e32 v9, vcc_lo, s5, v7, vcc_lo
	v_cvt_f32_f64_e32 v16, v[16:17]
	v_add_co_u32 v22, vcc_lo, v8, s4
	global_store_dwordx2 v[6:7], v[2:3], off
	global_store_dwordx2 v[8:9], v[4:5], off
	v_cvt_f32_f64_e32 v17, v[28:29]
	v_mul_f64 v[10:11], v[24:25], s[0:1]
	v_add_co_ci_u32_e32 v23, vcc_lo, s5, v9, vcc_lo
	v_mul_f64 v[24:25], v[26:27], s[0:1]
	s_clause 0x1
	buffer_load_dword v35, off, s[20:23], 0 offset:196
	buffer_load_dword v36, off, s[20:23], 0 offset:200
	v_cvt_f64_f32_e32 v[8:9], v32
	v_mul_f32_e32 v2, v40, v12
	v_add_nc_u32_e32 v3, 0x2400, v254
	v_cvt_f64_f32_e32 v[30:31], v33
	v_cvt_f64_f32_e32 v[6:7], v37
	v_mul_f64 v[20:21], v[20:21], s[0:1]
	v_fma_f32 v2, v39, v13, -v2
	v_cvt_f64_f32_e32 v[12:13], v34
	s_mul_hi_u32 s3, s8, 0xffffde88
	s_mul_i32 s2, s9, 0xffffde88
	s_sub_i32 s3, s3, s8
	v_cvt_f64_f32_e32 v[28:29], v2
	ds_read2_b64 v[2:5], v3 offset0:108 offset1:171
	s_add_i32 s2, s3, s2
	s_mul_i32 s3, s8, 0xffffde88
	global_store_dwordx2 v[22:23], v[16:17], off
	v_cvt_f32_f64_e32 v10, v[10:11]
	v_cvt_f32_f64_e32 v11, v[24:25]
	v_mul_f64 v[24:25], v[8:9], s[0:1]
	s_clause 0x3
	buffer_load_dword v8, off, s[20:23], 0 offset:188
	buffer_load_dword v9, off, s[20:23], 0 offset:192
	;; [unrolled: 1-line block ×4, first 2 shown]
	v_mul_f64 v[26:27], v[30:31], s[0:1]
	v_cvt_f32_f64_e32 v20, v[20:21]
	v_mul_f64 v[12:13], v[12:13], s[0:1]
	v_cvt_f32_f64_e32 v21, v[26:27]
	;; [unrolled: 2-line block ×3, first 2 shown]
	v_cvt_f32_f64_e32 v13, v[26:27]
	s_waitcnt vmcnt(4)
	v_mul_f32_e32 v30, v36, v19
	v_fmac_f32_e32 v30, v35, v18
	v_mul_f32_e32 v18, v36, v18
	v_cvt_f64_f32_e32 v[30:31], v30
	v_fma_f32 v18, v35, v19, -v18
	v_cvt_f64_f32_e32 v[16:17], v18
	v_add_co_u32 v18, vcc_lo, v22, s3
	v_add_co_ci_u32_e32 v19, vcc_lo, s2, v23, vcc_lo
	v_mul_f64 v[22:23], v[6:7], s[0:1]
	s_waitcnt vmcnt(2) lgkmcnt(0)
	v_mul_f32_e32 v7, v9, v2
	v_mul_f32_e32 v6, v9, v3
	s_waitcnt vmcnt(0)
	v_mul_f32_e32 v32, v34, v15
	global_store_dwordx2 v[18:19], v[10:11], off
	v_fma_f32 v7, v8, v3, -v7
	v_fmac_f32_e32 v6, v8, v2
	v_mul_f32_e32 v8, v34, v14
	v_mul_f64 v[28:29], v[30:31], s[0:1]
	v_fmac_f32_e32 v32, v33, v14
	v_cvt_f64_f32_e32 v[30:31], v7
	v_add_co_u32 v14, vcc_lo, v18, s4
	v_fma_f32 v33, v33, v15, -v8
	v_add_co_ci_u32_e32 v15, vcc_lo, s5, v19, vcc_lo
	v_mul_f64 v[2:3], v[16:17], s[0:1]
	v_cvt_f64_f32_e32 v[16:17], v6
	v_add_nc_u32_e32 v6, 0x1400, v254
	global_store_dwordx2 v[14:15], v[20:21], off
	v_cvt_f64_f32_e32 v[10:11], v32
	v_cvt_f32_f64_e32 v20, v[22:23]
	v_cvt_f32_f64_e32 v21, v[24:25]
	ds_read2_b64 v[6:9], v6 offset0:116 offset1:179
	v_add_co_u32 v14, vcc_lo, v14, s4
	v_add_co_ci_u32_e32 v15, vcc_lo, s5, v15, vcc_lo
	v_cvt_f64_f32_e32 v[18:19], v33
	v_add_co_u32 v22, vcc_lo, v14, s3
	v_cvt_f32_f64_e32 v24, v[28:29]
	v_mul_f64 v[26:27], v[30:31], s[0:1]
	s_clause 0x3
	buffer_load_dword v30, off, s[20:23], 0 offset:164
	buffer_load_dword v31, off, s[20:23], 0 offset:168
	;; [unrolled: 1-line block ×4, first 2 shown]
	v_add_co_ci_u32_e32 v23, vcc_lo, s2, v15, vcc_lo
	v_cvt_f32_f64_e32 v25, v[2:3]
	v_mul_f64 v[16:17], v[16:17], s[0:1]
	v_mul_f64 v[28:29], v[10:11], s[0:1]
	v_add_nc_u32_e32 v10, 0x400, v254
	global_store_dwordx2 v[14:15], v[20:21], off
	v_mul_f64 v[18:19], v[18:19], s[0:1]
	v_cvt_f32_f64_e32 v16, v[16:17]
	v_cvt_f32_f64_e32 v17, v[26:27]
	s_waitcnt vmcnt(2) lgkmcnt(0)
	v_mul_f32_e32 v2, v31, v7
	s_waitcnt vmcnt(0)
	v_mul_f32_e32 v32, v35, v5
	v_mul_f32_e32 v3, v31, v6
	v_fmac_f32_e32 v2, v30, v6
	v_fmac_f32_e32 v32, v34, v4
	v_mul_f32_e32 v4, v35, v4
	v_fma_f32 v3, v30, v7, -v3
	v_cvt_f64_f32_e32 v[6:7], v2
	v_cvt_f64_f32_e32 v[32:33], v32
	v_fma_f32 v11, v34, v5, -v4
	v_add_co_u32 v34, vcc_lo, v22, s4
	v_cvt_f64_f32_e32 v[30:31], v3
	ds_read2_b64 v[2:5], v10 offset0:124 offset1:187
	v_add_co_ci_u32_e32 v35, vcc_lo, s5, v23, vcc_lo
	v_add_nc_u32_e32 v10, 0x2800, v254
	v_add_co_u32 v20, vcc_lo, v34, s4
	global_store_dwordx2 v[22:23], v[12:13], off
	global_store_dwordx2 v[34:35], v[24:25], off
	v_cvt_f64_f32_e32 v[14:15], v11
	ds_read2_b64 v[10:13], v10 offset0:106 offset1:169
	v_add_co_ci_u32_e32 v21, vcc_lo, s5, v35, vcc_lo
	v_cvt_f32_f64_e32 v22, v[28:29]
	s_clause 0x3
	buffer_load_dword v28, off, s[20:23], 0 offset:124
	buffer_load_dword v29, off, s[20:23], 0 offset:128
	;; [unrolled: 1-line block ×4, first 2 shown]
	v_cvt_f32_f64_e32 v23, v[18:19]
	v_mul_f64 v[18:19], v[6:7], s[0:1]
	v_mul_f64 v[26:27], v[32:33], s[0:1]
	;; [unrolled: 1-line block ×3, first 2 shown]
	v_cvt_f32_f64_e32 v18, v[18:19]
	v_cvt_f32_f64_e32 v19, v[24:25]
	;; [unrolled: 1-line block ×3, first 2 shown]
	s_waitcnt vmcnt(2) lgkmcnt(1)
	v_mul_f32_e32 v7, v29, v2
	s_waitcnt vmcnt(0)
	v_mul_f32_e32 v34, v36, v9
	v_mul_f32_e32 v6, v29, v3
	v_fma_f32 v7, v28, v3, -v7
	v_fmac_f32_e32 v34, v35, v8
	v_mul_f32_e32 v8, v36, v8
	s_clause 0x1
	buffer_load_dword v36, off, s[20:23], 0 offset:140
	buffer_load_dword v37, off, s[20:23], 0 offset:144
	v_fmac_f32_e32 v6, v28, v2
	v_cvt_f64_f32_e32 v[28:29], v7
	v_cvt_f64_f32_e32 v[30:31], v34
	v_mul_f64 v[2:3], v[14:15], s[0:1]
	v_cvt_f64_f32_e32 v[14:15], v6
	v_fma_f32 v6, v35, v9, -v8
	v_add_nc_u32_e32 v8, 0x1800, v254
	v_cvt_f64_f32_e32 v[32:33], v6
	v_mul_f64 v[26:27], v[30:31], s[0:1]
	v_cvt_f32_f64_e32 v25, v[2:3]
	v_add_nc_u32_e32 v3, 0x800, v254
	v_mul_f64 v[14:15], v[14:15], s[0:1]
	v_cvt_f32_f64_e32 v26, v[26:27]
	v_cvt_f32_f64_e32 v14, v[14:15]
	s_waitcnt vmcnt(0) lgkmcnt(0)
	v_mul_f32_e32 v34, v37, v11
	v_mul_f32_e32 v7, v37, v10
	s_clause 0x1
	buffer_load_dword v37, off, s[20:23], 0 offset:116
	buffer_load_dword v38, off, s[20:23], 0 offset:120
	global_store_dwordx2 v[20:21], v[16:17], off
	v_fmac_f32_e32 v34, v36, v10
	v_add_co_u32 v10, vcc_lo, v20, s3
	v_fma_f32 v36, v36, v11, -v7
	v_add_co_ci_u32_e32 v11, vcc_lo, s2, v21, vcc_lo
	ds_read2_b64 v[6:9], v8 offset0:114 offset1:177
	v_cvt_f64_f32_e32 v[16:17], v34
	v_cvt_f64_f32_e32 v[20:21], v36
	global_store_dwordx2 v[10:11], v[22:23], off
	v_add_co_u32 v22, vcc_lo, v10, s4
	v_add_co_ci_u32_e32 v23, vcc_lo, s5, v11, vcc_lo
	v_mul_f64 v[10:11], v[28:29], s[0:1]
	v_mul_f64 v[28:29], v[32:33], s[0:1]
	;; [unrolled: 1-line block ×4, first 2 shown]
	v_cvt_f32_f64_e32 v15, v[10:11]
	v_cvt_f32_f64_e32 v27, v[28:29]
	;; [unrolled: 1-line block ×4, first 2 shown]
	s_waitcnt vmcnt(0)
	v_mul_f32_e32 v35, v38, v5
	v_fmac_f32_e32 v35, v37, v4
	v_mul_f32_e32 v4, v38, v4
	v_cvt_f64_f32_e32 v[34:35], v35
	v_fma_f32 v4, v37, v5, -v4
	s_clause 0x1
	buffer_load_dword v36, off, s[20:23], 0 offset:108
	buffer_load_dword v37, off, s[20:23], 0 offset:112
	v_cvt_f64_f32_e32 v[30:31], v4
	v_mul_f64 v[32:33], v[34:35], s[0:1]
	v_mul_f64 v[10:11], v[30:31], s[0:1]
	v_cvt_f32_f64_e32 v20, v[32:33]
	s_waitcnt vmcnt(0) lgkmcnt(0)
	v_mul_f32_e32 v5, v37, v7
	v_mul_f32_e32 v2, v37, v6
	v_fmac_f32_e32 v5, v36, v6
	v_fma_f32 v2, v36, v7, -v2
	v_add_co_u32 v6, vcc_lo, v22, s4
	v_add_co_ci_u32_e32 v7, vcc_lo, s5, v23, vcc_lo
	v_cvt_f64_f32_e32 v[34:35], v5
	v_cvt_f64_f32_e32 v[36:37], v2
	ds_read2_b64 v[2:5], v3 offset0:122 offset1:185
	s_clause 0x1
	buffer_load_dword v42, off, s[20:23], 0 offset:100
	buffer_load_dword v43, off, s[20:23], 0 offset:104
	v_add_co_u32 v38, vcc_lo, v6, s3
	v_add_co_ci_u32_e32 v39, vcc_lo, s2, v7, vcc_lo
	v_add_co_u32 v28, vcc_lo, v38, s4
	v_add_co_ci_u32_e32 v29, vcc_lo, s5, v39, vcc_lo
	v_mul_f64 v[30:31], v[34:35], s[0:1]
	v_mul_f64 v[32:33], v[36:37], s[0:1]
	s_waitcnt vmcnt(0)
	v_mul_f32_e32 v40, v43, v13
	v_mul_f32_e32 v21, v43, v12
	s_clause 0x1
	buffer_load_dword v43, off, s[20:23], 0 offset:132
	buffer_load_dword v44, off, s[20:23], 0 offset:136
	v_fmac_f32_e32 v40, v42, v12
	v_fma_f32 v13, v42, v13, -v21
	v_cvt_f32_f64_e32 v21, v[10:11]
	v_add_nc_u32_e32 v42, 0x2c00, v254
	v_cvt_f64_f32_e32 v[34:35], v40
	s_waitcnt vmcnt(0) lgkmcnt(0)
	v_mul_f32_e32 v12, v44, v3
	v_mul_f32_e32 v41, v44, v2
	v_fmac_f32_e32 v12, v43, v2
	v_fma_f32 v40, v43, v3, -v41
	v_cvt_f64_f32_e32 v[2:3], v13
	v_cvt_f64_f32_e32 v[36:37], v12
	ds_read2_b64 v[10:13], v42 offset0:104 offset1:167
	v_add_co_u32 v42, vcc_lo, v28, s4
	v_add_co_ci_u32_e32 v43, vcc_lo, s5, v29, vcc_lo
	global_store_dwordx2 v[22:23], v[18:19], off
	global_store_dwordx2 v[6:7], v[24:25], off
	global_store_dwordx2 v[38:39], v[14:15], off
	global_store_dwordx2 v[28:29], v[26:27], off
	global_store_dwordx2 v[42:43], v[16:17], off
	v_add_co_u32 v6, vcc_lo, v42, s3
	v_add_co_ci_u32_e32 v7, vcc_lo, s2, v43, vcc_lo
	s_clause 0x1
	buffer_load_dword v25, off, s[20:23], 0 offset:84
	buffer_load_dword v26, off, s[20:23], 0 offset:88
	v_cvt_f32_f64_e32 v14, v[30:31]
	v_cvt_f32_f64_e32 v15, v[32:33]
	global_store_dwordx2 v[6:7], v[20:21], off
	s_clause 0x1
	buffer_load_dword v27, off, s[20:23], 0 offset:92
	buffer_load_dword v28, off, s[20:23], 0 offset:96
	v_cvt_f64_f32_e32 v[40:41], v40
	v_mul_f64 v[16:17], v[34:35], s[0:1]
	v_mul_f64 v[2:3], v[2:3], s[0:1]
	;; [unrolled: 1-line block ×4, first 2 shown]
	s_waitcnt vmcnt(2)
	v_mul_f32_e32 v22, v26, v9
	s_waitcnt vmcnt(0) lgkmcnt(0)
	v_mul_f32_e32 v24, v28, v10
	v_fmac_f32_e32 v22, v25, v8
	v_mul_f32_e32 v8, v26, v8
	v_mul_f32_e32 v26, v28, v11
	v_cvt_f64_f32_e32 v[22:23], v22
	v_fma_f32 v8, v25, v9, -v8
	v_fmac_f32_e32 v26, v27, v10
	v_add_co_u32 v10, vcc_lo, v6, s4
	v_fma_f32 v9, v27, v11, -v24
	v_add_co_ci_u32_e32 v11, vcc_lo, s5, v7, vcc_lo
	v_add_nc_u32_e32 v6, 0x1c00, v254
	v_cvt_f64_f32_e32 v[24:25], v8
	v_cvt_f64_f32_e32 v[28:29], v9
	global_store_dwordx2 v[10:11], v[14:15], off
	v_cvt_f64_f32_e32 v[26:27], v26
	ds_read2_b64 v[6:9], v6 offset0:112 offset1:175
	s_clause 0x1
	buffer_load_dword v32, off, s[20:23], 0 offset:76
	buffer_load_dword v33, off, s[20:23], 0 offset:80
	v_cvt_f32_f64_e32 v15, v[2:3]
	v_add_co_u32 v2, vcc_lo, v10, s4
	v_add_co_ci_u32_e32 v3, vcc_lo, s5, v11, vcc_lo
	v_cvt_f32_f64_e32 v10, v[18:19]
	v_cvt_f32_f64_e32 v11, v[20:21]
	v_mul_f64 v[18:19], v[22:23], s[0:1]
	v_cvt_f32_f64_e32 v14, v[16:17]
	v_add_co_u32 v16, vcc_lo, v2, s3
	v_add_co_ci_u32_e32 v17, vcc_lo, s2, v3, vcc_lo
	v_mul_f64 v[20:21], v[24:25], s[0:1]
	v_mul_f64 v[22:23], v[28:29], s[0:1]
	s_waitcnt vmcnt(0)
	v_mul_f32_e32 v30, v33, v5
	v_mul_f32_e32 v31, v33, v4
	v_fmac_f32_e32 v30, v32, v4
	v_fma_f32 v31, v32, v5, -v31
	v_mul_f64 v[4:5], v[26:27], s[0:1]
	ds_read_b64 v[26:27], v254 offset:13104
	s_clause 0x5
	buffer_load_dword v37, off, s[20:23], 0 offset:68
	buffer_load_dword v38, off, s[20:23], 0 offset:72
	;; [unrolled: 1-line block ×6, first 2 shown]
	v_cvt_f64_f32_e32 v[24:25], v30
	v_cvt_f64_f32_e32 v[28:29], v31
	v_cvt_f32_f64_e32 v4, v[4:5]
	v_cvt_f32_f64_e32 v5, v[22:23]
	s_waitcnt vmcnt(4) lgkmcnt(1)
	v_mul_f32_e32 v30, v38, v7
	v_mul_f32_e32 v31, v38, v6
	s_waitcnt vmcnt(0)
	v_mul_f32_e32 v34, v41, v1
	v_mul_f32_e32 v32, v36, v13
	;; [unrolled: 1-line block ×3, first 2 shown]
	v_fmac_f32_e32 v30, v37, v6
	v_fma_f32 v31, v37, v7, -v31
	v_fmac_f32_e32 v34, v40, v0
	v_mul_f32_e32 v0, v41, v0
	s_clause 0x1
	buffer_load_dword v41, off, s[20:23], 0 offset:52
	buffer_load_dword v42, off, s[20:23], 0 offset:56
	v_fmac_f32_e32 v32, v35, v12
	v_fma_f32 v33, v35, v13, -v33
	v_cvt_f64_f32_e32 v[6:7], v30
	v_fma_f32 v0, v40, v1, -v0
	v_cvt_f64_f32_e32 v[12:13], v31
	v_cvt_f64_f32_e32 v[30:31], v32
	;; [unrolled: 1-line block ×5, first 2 shown]
	v_mul_f64 v[6:7], v[6:7], s[0:1]
	v_mul_f64 v[12:13], v[12:13], s[0:1]
	;; [unrolled: 1-line block ×4, first 2 shown]
	v_cvt_f32_f64_e32 v6, v[6:7]
	v_cvt_f32_f64_e32 v7, v[12:13]
	s_waitcnt vmcnt(0)
	v_mul_f32_e32 v36, v42, v9
	v_mul_f32_e32 v37, v42, v8
	s_clause 0x1
	buffer_load_dword v42, off, s[20:23], 0 offset:60
	buffer_load_dword v43, off, s[20:23], 0 offset:64
	global_store_dwordx2 v[2:3], v[14:15], off
	global_store_dwordx2 v[16:17], v[10:11], off
	v_mul_f64 v[10:11], v[24:25], s[0:1]
	v_fmac_f32_e32 v36, v41, v8
	v_fma_f32 v37, v41, v9, -v37
	v_mul_f64 v[14:15], v[28:29], s[0:1]
	v_cvt_f32_f64_e32 v2, v[18:19]
	v_cvt_f32_f64_e32 v3, v[20:21]
	v_cvt_f64_f32_e32 v[8:9], v36
	v_mul_f64 v[18:19], v[30:31], s[0:1]
	v_mul_f64 v[20:21], v[32:33], s[0:1]
	v_add_co_u32 v16, vcc_lo, v16, s4
	v_add_co_ci_u32_e32 v17, vcc_lo, s5, v17, vcc_lo
	v_add_co_u32 v30, vcc_lo, v16, s4
	v_add_co_ci_u32_e32 v31, vcc_lo, s5, v17, vcc_lo
	v_cvt_f32_f64_e32 v10, v[10:11]
	v_cvt_f32_f64_e32 v11, v[14:15]
	v_add_co_u32 v14, vcc_lo, v30, s3
	v_mul_f64 v[8:9], v[8:9], s[0:1]
	v_add_co_ci_u32_e32 v15, vcc_lo, s2, v31, vcc_lo
	v_add_co_u32 v12, vcc_lo, v14, s4
	v_cvt_f32_f64_e32 v18, v[18:19]
	v_add_co_ci_u32_e32 v13, vcc_lo, s5, v15, vcc_lo
	v_cvt_f32_f64_e32 v19, v[20:21]
	v_cvt_f32_f64_e32 v20, v[22:23]
	;; [unrolled: 1-line block ×3, first 2 shown]
	v_add_co_u32 v22, vcc_lo, v12, s4
	v_add_co_ci_u32_e32 v23, vcc_lo, s5, v13, vcc_lo
	global_store_dwordx2 v[16:17], v[2:3], off
	v_add_co_u32 v2, vcc_lo, v22, s3
	v_add_co_ci_u32_e32 v3, vcc_lo, s2, v23, vcc_lo
	global_store_dwordx2 v[30:31], v[4:5], off
	v_add_co_u32 v4, vcc_lo, v2, s4
	v_cvt_f32_f64_e32 v0, v[8:9]
	v_add_co_ci_u32_e32 v5, vcc_lo, s5, v3, vcc_lo
	global_store_dwordx2 v[14:15], v[10:11], off
	v_add_co_u32 v10, vcc_lo, v4, s4
	v_add_co_ci_u32_e32 v11, vcc_lo, s5, v5, vcc_lo
	s_waitcnt vmcnt(0) lgkmcnt(0)
	v_mul_f32_e32 v38, v43, v27
	v_mul_f32_e32 v39, v43, v26
	v_fmac_f32_e32 v38, v42, v26
	v_fma_f32 v39, v42, v27, -v39
	v_cvt_f64_f32_e32 v[26:27], v37
	v_cvt_f64_f32_e32 v[36:37], v38
	;; [unrolled: 1-line block ×3, first 2 shown]
	v_mul_f64 v[24:25], v[26:27], s[0:1]
	v_mul_f64 v[26:27], v[36:37], s[0:1]
	;; [unrolled: 1-line block ×3, first 2 shown]
	v_cvt_f32_f64_e32 v1, v[24:25]
	v_cvt_f32_f64_e32 v8, v[26:27]
	;; [unrolled: 1-line block ×3, first 2 shown]
	global_store_dwordx2 v[12:13], v[6:7], off
	global_store_dwordx2 v[22:23], v[18:19], off
	;; [unrolled: 1-line block ×5, first 2 shown]
.LBB0_10:
	s_endpgm
	.section	.rodata,"a",@progbits
	.p2align	6, 0x0
	.amdhsa_kernel bluestein_single_back_len1701_dim1_sp_op_CI_CI
		.amdhsa_group_segment_fixed_size 13608
		.amdhsa_private_segment_fixed_size 544
		.amdhsa_kernarg_size 104
		.amdhsa_user_sgpr_count 6
		.amdhsa_user_sgpr_private_segment_buffer 1
		.amdhsa_user_sgpr_dispatch_ptr 0
		.amdhsa_user_sgpr_queue_ptr 0
		.amdhsa_user_sgpr_kernarg_segment_ptr 1
		.amdhsa_user_sgpr_dispatch_id 0
		.amdhsa_user_sgpr_flat_scratch_init 0
		.amdhsa_user_sgpr_private_segment_size 0
		.amdhsa_wavefront_size32 1
		.amdhsa_uses_dynamic_stack 0
		.amdhsa_system_sgpr_private_segment_wavefront_offset 1
		.amdhsa_system_sgpr_workgroup_id_x 1
		.amdhsa_system_sgpr_workgroup_id_y 0
		.amdhsa_system_sgpr_workgroup_id_z 0
		.amdhsa_system_sgpr_workgroup_info 0
		.amdhsa_system_vgpr_workitem_id 0
		.amdhsa_next_free_vgpr 256
		.amdhsa_next_free_sgpr 24
		.amdhsa_reserve_vcc 1
		.amdhsa_reserve_flat_scratch 0
		.amdhsa_float_round_mode_32 0
		.amdhsa_float_round_mode_16_64 0
		.amdhsa_float_denorm_mode_32 3
		.amdhsa_float_denorm_mode_16_64 3
		.amdhsa_dx10_clamp 1
		.amdhsa_ieee_mode 1
		.amdhsa_fp16_overflow 0
		.amdhsa_workgroup_processor_mode 1
		.amdhsa_memory_ordered 1
		.amdhsa_forward_progress 0
		.amdhsa_shared_vgpr_count 0
		.amdhsa_exception_fp_ieee_invalid_op 0
		.amdhsa_exception_fp_denorm_src 0
		.amdhsa_exception_fp_ieee_div_zero 0
		.amdhsa_exception_fp_ieee_overflow 0
		.amdhsa_exception_fp_ieee_underflow 0
		.amdhsa_exception_fp_ieee_inexact 0
		.amdhsa_exception_int_div_zero 0
	.end_amdhsa_kernel
	.text
.Lfunc_end0:
	.size	bluestein_single_back_len1701_dim1_sp_op_CI_CI, .Lfunc_end0-bluestein_single_back_len1701_dim1_sp_op_CI_CI
                                        ; -- End function
	.section	.AMDGPU.csdata,"",@progbits
; Kernel info:
; codeLenInByte = 30576
; NumSgprs: 26
; NumVgprs: 256
; ScratchSize: 544
; MemoryBound: 0
; FloatMode: 240
; IeeeMode: 1
; LDSByteSize: 13608 bytes/workgroup (compile time only)
; SGPRBlocks: 3
; VGPRBlocks: 31
; NumSGPRsForWavesPerEU: 26
; NumVGPRsForWavesPerEU: 256
; Occupancy: 4
; WaveLimiterHint : 1
; COMPUTE_PGM_RSRC2:SCRATCH_EN: 1
; COMPUTE_PGM_RSRC2:USER_SGPR: 6
; COMPUTE_PGM_RSRC2:TRAP_HANDLER: 0
; COMPUTE_PGM_RSRC2:TGID_X_EN: 1
; COMPUTE_PGM_RSRC2:TGID_Y_EN: 0
; COMPUTE_PGM_RSRC2:TGID_Z_EN: 0
; COMPUTE_PGM_RSRC2:TIDIG_COMP_CNT: 0
	.text
	.p2alignl 6, 3214868480
	.fill 48, 4, 3214868480
	.type	__hip_cuid_93a7e9ada8f8e35a,@object ; @__hip_cuid_93a7e9ada8f8e35a
	.section	.bss,"aw",@nobits
	.globl	__hip_cuid_93a7e9ada8f8e35a
__hip_cuid_93a7e9ada8f8e35a:
	.byte	0                               ; 0x0
	.size	__hip_cuid_93a7e9ada8f8e35a, 1

	.ident	"AMD clang version 19.0.0git (https://github.com/RadeonOpenCompute/llvm-project roc-6.4.0 25133 c7fe45cf4b819c5991fe208aaa96edf142730f1d)"
	.section	".note.GNU-stack","",@progbits
	.addrsig
	.addrsig_sym __hip_cuid_93a7e9ada8f8e35a
	.amdgpu_metadata
---
amdhsa.kernels:
  - .args:
      - .actual_access:  read_only
        .address_space:  global
        .offset:         0
        .size:           8
        .value_kind:     global_buffer
      - .actual_access:  read_only
        .address_space:  global
        .offset:         8
        .size:           8
        .value_kind:     global_buffer
      - .actual_access:  read_only
        .address_space:  global
        .offset:         16
        .size:           8
        .value_kind:     global_buffer
      - .actual_access:  read_only
        .address_space:  global
        .offset:         24
        .size:           8
        .value_kind:     global_buffer
      - .actual_access:  read_only
        .address_space:  global
        .offset:         32
        .size:           8
        .value_kind:     global_buffer
      - .offset:         40
        .size:           8
        .value_kind:     by_value
      - .address_space:  global
        .offset:         48
        .size:           8
        .value_kind:     global_buffer
      - .address_space:  global
        .offset:         56
        .size:           8
        .value_kind:     global_buffer
      - .address_space:  global
        .offset:         64
        .size:           8
        .value_kind:     global_buffer
      - .address_space:  global
        .offset:         72
        .size:           8
        .value_kind:     global_buffer
      - .offset:         80
        .size:           4
        .value_kind:     by_value
      - .address_space:  global
        .offset:         88
        .size:           8
        .value_kind:     global_buffer
      - .address_space:  global
        .offset:         96
        .size:           8
        .value_kind:     global_buffer
    .group_segment_fixed_size: 13608
    .kernarg_segment_align: 8
    .kernarg_segment_size: 104
    .language:       OpenCL C
    .language_version:
      - 2
      - 0
    .max_flat_workgroup_size: 63
    .name:           bluestein_single_back_len1701_dim1_sp_op_CI_CI
    .private_segment_fixed_size: 544
    .sgpr_count:     26
    .sgpr_spill_count: 0
    .symbol:         bluestein_single_back_len1701_dim1_sp_op_CI_CI.kd
    .uniform_work_group_size: 1
    .uses_dynamic_stack: false
    .vgpr_count:     256
    .vgpr_spill_count: 137
    .wavefront_size: 32
    .workgroup_processor_mode: 1
amdhsa.target:   amdgcn-amd-amdhsa--gfx1030
amdhsa.version:
  - 1
  - 2
...

	.end_amdgpu_metadata
